;; amdgpu-corpus repo=ROCm/rocFFT kind=compiled arch=gfx1201 opt=O3
	.text
	.amdgcn_target "amdgcn-amd-amdhsa--gfx1201"
	.amdhsa_code_object_version 6
	.protected	fft_rtc_fwd_len325_factors_13_5_5_wgs_52_tpt_13_dp_ip_CI_unitstride_sbrr_dirReg ; -- Begin function fft_rtc_fwd_len325_factors_13_5_5_wgs_52_tpt_13_dp_ip_CI_unitstride_sbrr_dirReg
	.globl	fft_rtc_fwd_len325_factors_13_5_5_wgs_52_tpt_13_dp_ip_CI_unitstride_sbrr_dirReg
	.p2align	8
	.type	fft_rtc_fwd_len325_factors_13_5_5_wgs_52_tpt_13_dp_ip_CI_unitstride_sbrr_dirReg,@function
fft_rtc_fwd_len325_factors_13_5_5_wgs_52_tpt_13_dp_ip_CI_unitstride_sbrr_dirReg: ; @fft_rtc_fwd_len325_factors_13_5_5_wgs_52_tpt_13_dp_ip_CI_unitstride_sbrr_dirReg
; %bb.0:
	s_clause 0x2
	s_load_b128 s[4:7], s[0:1], 0x0
	s_load_b64 s[8:9], s[0:1], 0x50
	s_load_b64 s[10:11], s[0:1], 0x18
	v_mul_u32_u24_e32 v1, 0x13b2, v0
	v_mov_b32_e32 v3, 0
	s_delay_alu instid0(VALU_DEP_2) | instskip(SKIP_2) | instid1(VALU_DEP_4)
	v_lshrrev_b32_e32 v9, 16, v1
	v_mov_b32_e32 v1, 0
	v_mov_b32_e32 v2, 0
	;; [unrolled: 1-line block ×3, first 2 shown]
	s_delay_alu instid0(VALU_DEP_4) | instskip(SKIP_2) | instid1(VALU_DEP_1)
	v_lshl_add_u32 v5, ttmp9, 2, v9
	s_wait_kmcnt 0x0
	v_cmp_lt_u64_e64 s2, s[6:7], 2
	s_and_b32 vcc_lo, exec_lo, s2
	s_cbranch_vccnz .LBB0_8
; %bb.1:
	s_load_b64 s[2:3], s[0:1], 0x10
	v_mov_b32_e32 v1, 0
	v_mov_b32_e32 v2, 0
	s_add_nc_u64 s[12:13], s[10:11], 8
	s_mov_b64 s[14:15], 1
	s_wait_kmcnt 0x0
	s_add_nc_u64 s[16:17], s[2:3], 8
	s_mov_b32 s3, 0
.LBB0_2:                                ; =>This Inner Loop Header: Depth=1
	s_load_b64 s[18:19], s[16:17], 0x0
                                        ; implicit-def: $vgpr7_vgpr8
	s_mov_b32 s2, exec_lo
	s_wait_kmcnt 0x0
	v_or_b32_e32 v4, s19, v6
	s_delay_alu instid0(VALU_DEP_1)
	v_cmpx_ne_u64_e32 0, v[3:4]
	s_wait_alu 0xfffe
	s_xor_b32 s20, exec_lo, s2
	s_cbranch_execz .LBB0_4
; %bb.3:                                ;   in Loop: Header=BB0_2 Depth=1
	s_cvt_f32_u32 s2, s18
	s_cvt_f32_u32 s21, s19
	s_sub_nc_u64 s[24:25], 0, s[18:19]
	s_wait_alu 0xfffe
	s_delay_alu instid0(SALU_CYCLE_1) | instskip(SKIP_1) | instid1(SALU_CYCLE_2)
	s_fmamk_f32 s2, s21, 0x4f800000, s2
	s_wait_alu 0xfffe
	v_s_rcp_f32 s2, s2
	s_delay_alu instid0(TRANS32_DEP_1) | instskip(SKIP_1) | instid1(SALU_CYCLE_2)
	s_mul_f32 s2, s2, 0x5f7ffffc
	s_wait_alu 0xfffe
	s_mul_f32 s21, s2, 0x2f800000
	s_wait_alu 0xfffe
	s_delay_alu instid0(SALU_CYCLE_2) | instskip(SKIP_1) | instid1(SALU_CYCLE_2)
	s_trunc_f32 s21, s21
	s_wait_alu 0xfffe
	s_fmamk_f32 s2, s21, 0xcf800000, s2
	s_cvt_u32_f32 s23, s21
	s_wait_alu 0xfffe
	s_delay_alu instid0(SALU_CYCLE_1) | instskip(SKIP_1) | instid1(SALU_CYCLE_2)
	s_cvt_u32_f32 s22, s2
	s_wait_alu 0xfffe
	s_mul_u64 s[26:27], s[24:25], s[22:23]
	s_wait_alu 0xfffe
	s_mul_hi_u32 s29, s22, s27
	s_mul_i32 s28, s22, s27
	s_mul_hi_u32 s2, s22, s26
	s_mul_i32 s30, s23, s26
	s_wait_alu 0xfffe
	s_add_nc_u64 s[28:29], s[2:3], s[28:29]
	s_mul_hi_u32 s21, s23, s26
	s_mul_hi_u32 s31, s23, s27
	s_add_co_u32 s2, s28, s30
	s_wait_alu 0xfffe
	s_add_co_ci_u32 s2, s29, s21
	s_mul_i32 s26, s23, s27
	s_add_co_ci_u32 s27, s31, 0
	s_wait_alu 0xfffe
	s_add_nc_u64 s[26:27], s[2:3], s[26:27]
	s_wait_alu 0xfffe
	v_add_co_u32 v4, s2, s22, s26
	s_delay_alu instid0(VALU_DEP_1) | instskip(SKIP_1) | instid1(VALU_DEP_1)
	s_cmp_lg_u32 s2, 0
	s_add_co_ci_u32 s23, s23, s27
	v_readfirstlane_b32 s22, v4
	s_wait_alu 0xfffe
	s_delay_alu instid0(VALU_DEP_1)
	s_mul_u64 s[24:25], s[24:25], s[22:23]
	s_wait_alu 0xfffe
	s_mul_hi_u32 s27, s22, s25
	s_mul_i32 s26, s22, s25
	s_mul_hi_u32 s2, s22, s24
	s_mul_i32 s28, s23, s24
	s_wait_alu 0xfffe
	s_add_nc_u64 s[26:27], s[2:3], s[26:27]
	s_mul_hi_u32 s21, s23, s24
	s_mul_hi_u32 s22, s23, s25
	s_wait_alu 0xfffe
	s_add_co_u32 s2, s26, s28
	s_add_co_ci_u32 s2, s27, s21
	s_mul_i32 s24, s23, s25
	s_add_co_ci_u32 s25, s22, 0
	s_wait_alu 0xfffe
	s_add_nc_u64 s[24:25], s[2:3], s[24:25]
	s_wait_alu 0xfffe
	v_add_co_u32 v4, s2, v4, s24
	s_delay_alu instid0(VALU_DEP_1) | instskip(SKIP_1) | instid1(VALU_DEP_1)
	s_cmp_lg_u32 s2, 0
	s_add_co_ci_u32 s2, s23, s25
	v_mul_hi_u32 v14, v5, v4
	s_wait_alu 0xfffe
	v_mad_co_u64_u32 v[7:8], null, v5, s2, 0
	v_mad_co_u64_u32 v[10:11], null, v6, v4, 0
	;; [unrolled: 1-line block ×3, first 2 shown]
	s_delay_alu instid0(VALU_DEP_3) | instskip(SKIP_1) | instid1(VALU_DEP_4)
	v_add_co_u32 v4, vcc_lo, v14, v7
	s_wait_alu 0xfffd
	v_add_co_ci_u32_e32 v7, vcc_lo, 0, v8, vcc_lo
	s_delay_alu instid0(VALU_DEP_2) | instskip(SKIP_1) | instid1(VALU_DEP_2)
	v_add_co_u32 v4, vcc_lo, v4, v10
	s_wait_alu 0xfffd
	v_add_co_ci_u32_e32 v4, vcc_lo, v7, v11, vcc_lo
	s_wait_alu 0xfffd
	v_add_co_ci_u32_e32 v7, vcc_lo, 0, v13, vcc_lo
	s_delay_alu instid0(VALU_DEP_2) | instskip(SKIP_1) | instid1(VALU_DEP_2)
	v_add_co_u32 v4, vcc_lo, v4, v12
	s_wait_alu 0xfffd
	v_add_co_ci_u32_e32 v10, vcc_lo, 0, v7, vcc_lo
	s_delay_alu instid0(VALU_DEP_2) | instskip(SKIP_1) | instid1(VALU_DEP_3)
	v_mul_lo_u32 v11, s19, v4
	v_mad_co_u64_u32 v[7:8], null, s18, v4, 0
	v_mul_lo_u32 v12, s18, v10
	s_delay_alu instid0(VALU_DEP_2) | instskip(NEXT) | instid1(VALU_DEP_2)
	v_sub_co_u32 v7, vcc_lo, v5, v7
	v_add3_u32 v8, v8, v12, v11
	s_delay_alu instid0(VALU_DEP_1) | instskip(SKIP_1) | instid1(VALU_DEP_1)
	v_sub_nc_u32_e32 v11, v6, v8
	s_wait_alu 0xfffd
	v_subrev_co_ci_u32_e64 v11, s2, s19, v11, vcc_lo
	v_add_co_u32 v12, s2, v4, 2
	s_wait_alu 0xf1ff
	v_add_co_ci_u32_e64 v13, s2, 0, v10, s2
	v_sub_co_u32 v14, s2, v7, s18
	v_sub_co_ci_u32_e32 v8, vcc_lo, v6, v8, vcc_lo
	s_wait_alu 0xf1ff
	v_subrev_co_ci_u32_e64 v11, s2, 0, v11, s2
	s_delay_alu instid0(VALU_DEP_3) | instskip(NEXT) | instid1(VALU_DEP_3)
	v_cmp_le_u32_e32 vcc_lo, s18, v14
	v_cmp_eq_u32_e64 s2, s19, v8
	s_wait_alu 0xfffd
	v_cndmask_b32_e64 v14, 0, -1, vcc_lo
	v_cmp_le_u32_e32 vcc_lo, s19, v11
	s_wait_alu 0xfffd
	v_cndmask_b32_e64 v15, 0, -1, vcc_lo
	v_cmp_le_u32_e32 vcc_lo, s18, v7
	;; [unrolled: 3-line block ×3, first 2 shown]
	s_wait_alu 0xfffd
	v_cndmask_b32_e64 v16, 0, -1, vcc_lo
	v_cmp_eq_u32_e32 vcc_lo, s19, v11
	s_wait_alu 0xf1ff
	s_delay_alu instid0(VALU_DEP_2)
	v_cndmask_b32_e64 v7, v16, v7, s2
	s_wait_alu 0xfffd
	v_cndmask_b32_e32 v11, v15, v14, vcc_lo
	v_add_co_u32 v14, vcc_lo, v4, 1
	s_wait_alu 0xfffd
	v_add_co_ci_u32_e32 v15, vcc_lo, 0, v10, vcc_lo
	s_delay_alu instid0(VALU_DEP_3) | instskip(SKIP_1) | instid1(VALU_DEP_2)
	v_cmp_ne_u32_e32 vcc_lo, 0, v11
	s_wait_alu 0xfffd
	v_dual_cndmask_b32 v8, v15, v13 :: v_dual_cndmask_b32 v11, v14, v12
	v_cmp_ne_u32_e32 vcc_lo, 0, v7
	s_wait_alu 0xfffd
	s_delay_alu instid0(VALU_DEP_2)
	v_dual_cndmask_b32 v8, v10, v8 :: v_dual_cndmask_b32 v7, v4, v11
.LBB0_4:                                ;   in Loop: Header=BB0_2 Depth=1
	s_wait_alu 0xfffe
	s_and_not1_saveexec_b32 s2, s20
	s_cbranch_execz .LBB0_6
; %bb.5:                                ;   in Loop: Header=BB0_2 Depth=1
	v_cvt_f32_u32_e32 v4, s18
	s_sub_co_i32 s20, 0, s18
	s_delay_alu instid0(VALU_DEP_1) | instskip(NEXT) | instid1(TRANS32_DEP_1)
	v_rcp_iflag_f32_e32 v4, v4
	v_mul_f32_e32 v4, 0x4f7ffffe, v4
	s_delay_alu instid0(VALU_DEP_1) | instskip(SKIP_1) | instid1(VALU_DEP_1)
	v_cvt_u32_f32_e32 v4, v4
	s_wait_alu 0xfffe
	v_mul_lo_u32 v7, s20, v4
	s_delay_alu instid0(VALU_DEP_1) | instskip(NEXT) | instid1(VALU_DEP_1)
	v_mul_hi_u32 v7, v4, v7
	v_add_nc_u32_e32 v4, v4, v7
	s_delay_alu instid0(VALU_DEP_1) | instskip(NEXT) | instid1(VALU_DEP_1)
	v_mul_hi_u32 v4, v5, v4
	v_mul_lo_u32 v7, v4, s18
	v_add_nc_u32_e32 v8, 1, v4
	s_delay_alu instid0(VALU_DEP_2) | instskip(NEXT) | instid1(VALU_DEP_1)
	v_sub_nc_u32_e32 v7, v5, v7
	v_subrev_nc_u32_e32 v10, s18, v7
	v_cmp_le_u32_e32 vcc_lo, s18, v7
	s_wait_alu 0xfffd
	s_delay_alu instid0(VALU_DEP_2) | instskip(NEXT) | instid1(VALU_DEP_1)
	v_dual_cndmask_b32 v7, v7, v10 :: v_dual_cndmask_b32 v4, v4, v8
	v_cmp_le_u32_e32 vcc_lo, s18, v7
	s_delay_alu instid0(VALU_DEP_2) | instskip(SKIP_1) | instid1(VALU_DEP_1)
	v_add_nc_u32_e32 v8, 1, v4
	s_wait_alu 0xfffd
	v_dual_cndmask_b32 v7, v4, v8 :: v_dual_mov_b32 v8, v3
.LBB0_6:                                ;   in Loop: Header=BB0_2 Depth=1
	s_wait_alu 0xfffe
	s_or_b32 exec_lo, exec_lo, s2
	s_load_b64 s[20:21], s[12:13], 0x0
	s_delay_alu instid0(VALU_DEP_1)
	v_mul_lo_u32 v4, v8, s18
	v_mul_lo_u32 v12, v7, s19
	v_mad_co_u64_u32 v[10:11], null, v7, s18, 0
	s_add_nc_u64 s[14:15], s[14:15], 1
	s_add_nc_u64 s[12:13], s[12:13], 8
	s_wait_alu 0xfffe
	v_cmp_ge_u64_e64 s2, s[14:15], s[6:7]
	s_add_nc_u64 s[16:17], s[16:17], 8
	s_delay_alu instid0(VALU_DEP_2) | instskip(NEXT) | instid1(VALU_DEP_3)
	v_add3_u32 v4, v11, v12, v4
	v_sub_co_u32 v5, vcc_lo, v5, v10
	s_wait_alu 0xfffd
	s_delay_alu instid0(VALU_DEP_2) | instskip(SKIP_3) | instid1(VALU_DEP_2)
	v_sub_co_ci_u32_e32 v4, vcc_lo, v6, v4, vcc_lo
	s_and_b32 vcc_lo, exec_lo, s2
	s_wait_kmcnt 0x0
	v_mul_lo_u32 v6, s21, v5
	v_mul_lo_u32 v4, s20, v4
	v_mad_co_u64_u32 v[1:2], null, s20, v5, v[1:2]
	s_delay_alu instid0(VALU_DEP_1)
	v_add3_u32 v2, v6, v2, v4
	s_wait_alu 0xfffe
	s_cbranch_vccnz .LBB0_9
; %bb.7:                                ;   in Loop: Header=BB0_2 Depth=1
	v_dual_mov_b32 v5, v7 :: v_dual_mov_b32 v6, v8
	s_branch .LBB0_2
.LBB0_8:
	v_dual_mov_b32 v8, v6 :: v_dual_mov_b32 v7, v5
.LBB0_9:
	s_lshl_b64 s[2:3], s[6:7], 3
	v_mul_hi_u32 v3, 0x13b13b14, v0
	s_wait_alu 0xfffe
	s_add_nc_u64 s[2:3], s[10:11], s[2:3]
	s_load_b64 s[2:3], s[2:3], 0x0
	s_load_b64 s[0:1], s[0:1], 0x20
	s_delay_alu instid0(VALU_DEP_1) | instskip(NEXT) | instid1(VALU_DEP_1)
	v_mul_u32_u24_e32 v3, 13, v3
	v_sub_nc_u32_e32 v164, v0, v3
	v_and_b32_e32 v0, 3, v9
	s_delay_alu instid0(VALU_DEP_2)
	v_add_nc_u32_e32 v163, 13, v164
	s_wait_kmcnt 0x0
	v_mul_lo_u32 v4, s2, v8
	v_mul_lo_u32 v5, s3, v7
	v_mad_co_u64_u32 v[1:2], null, s2, v7, v[1:2]
	v_cmp_gt_u64_e32 vcc_lo, s[0:1], v[7:8]
	v_cmp_le_u64_e64 s0, s[0:1], v[7:8]
	s_delay_alu instid0(VALU_DEP_3) | instskip(NEXT) | instid1(VALU_DEP_2)
	v_add3_u32 v2, v5, v2, v4
	s_and_saveexec_b32 s1, s0
	s_wait_alu 0xfffe
	s_xor_b32 s0, exec_lo, s1
; %bb.10:
	v_add_nc_u32_e32 v163, 13, v164
; %bb.11:
	s_wait_alu 0xfffe
	s_or_saveexec_b32 s1, s0
	v_mul_u32_u24_e32 v0, 0x145, v0
	v_lshlrev_b64_e32 v[1:2], 4, v[1:2]
	s_delay_alu instid0(VALU_DEP_2)
	v_lshlrev_b32_e32 v159, 4, v0
	v_lshlrev_b32_e32 v0, 4, v164
	scratch_store_b64 off, v[1:2], off      ; 8-byte Folded Spill
	s_wait_alu 0xfffe
	s_xor_b32 exec_lo, exec_lo, s1
	s_cbranch_execz .LBB0_13
; %bb.12:
	scratch_load_b64 v[3:4], off, off       ; 8-byte Folded Reload
	v_mov_b32_e32 v165, 0
	v_add3_u32 v101, 0, v159, v0
	s_delay_alu instid0(VALU_DEP_2) | instskip(SKIP_4) | instid1(VALU_DEP_2)
	v_lshlrev_b64_e32 v[1:2], 4, v[164:165]
	s_wait_loadcnt 0x0
	v_add_co_u32 v3, s0, s8, v3
	s_wait_alu 0xf1ff
	v_add_co_ci_u32_e64 v4, s0, s9, v4, s0
	v_add_co_u32 v97, s0, v3, v1
	s_wait_alu 0xf1ff
	s_delay_alu instid0(VALU_DEP_2)
	v_add_co_ci_u32_e64 v98, s0, v4, v2, s0
	s_clause 0x18
	global_load_b128 v[1:4], v[97:98], off
	global_load_b128 v[5:8], v[97:98], off offset:208
	global_load_b128 v[9:12], v[97:98], off offset:416
	;; [unrolled: 1-line block ×24, first 2 shown]
	s_wait_loadcnt 0x18
	ds_store_b128 v101, v[1:4]
	s_wait_loadcnt 0x17
	ds_store_b128 v101, v[5:8] offset:208
	s_wait_loadcnt 0x16
	ds_store_b128 v101, v[9:12] offset:416
	;; [unrolled: 2-line block ×24, first 2 shown]
.LBB0_13:
	s_or_b32 exec_lo, exec_lo, s1
	v_add_nc_u32_e32 v1, 0, v0
	v_add_nc_u32_e32 v88, 0, v159
	global_wb scope:SCOPE_SE
	s_wait_storecnt_dscnt 0x0
	s_barrier_signal -1
	s_barrier_wait -1
	v_add_nc_u32_e32 v165, v1, v159
	v_add_nc_u32_e32 v0, v88, v0
	global_inv scope:SCOPE_SE
	s_mov_b32 s2, 0x4267c47c
	s_mov_b32 s20, 0x42a4c3d2
	ds_load_b128 v[56:59], v165 offset:400
	scratch_store_b32 off, v0, off offset:8 ; 4-byte Folded Spill
	ds_load_b128 v[52:55], v0
	ds_load_b128 v[0:3], v165 offset:208
	ds_load_b128 v[20:23], v165 offset:608
	;; [unrolled: 1-line block ×6, first 2 shown]
	s_mov_b32 s18, 0x66966769
	s_mov_b32 s26, 0x2ef20147
	;; [unrolled: 1-line block ×15, first 2 shown]
	s_wait_dscnt 0x6
	v_add_f64_e32 v[4:5], v[52:53], v[56:57]
	v_add_f64_e32 v[6:7], v[54:55], v[58:59]
	s_mov_b32 s14, 0x93053d00
	s_mov_b32 s13, 0x3fec55a7
	;; [unrolled: 1-line block ×12, first 2 shown]
	s_wait_alu 0xfffe
	s_mov_b32 s36, s18
	s_mov_b32 s34, s2
	;; [unrolled: 1-line block ×7, first 2 shown]
	s_mov_b32 s1, exec_lo
	s_wait_dscnt 0x3
	s_delay_alu instid0(VALU_DEP_2) | instskip(NEXT) | instid1(VALU_DEP_2)
	v_add_f64_e32 v[4:5], v[4:5], v[64:65]
	v_add_f64_e32 v[6:7], v[6:7], v[66:67]
	s_wait_dscnt 0x1
	s_delay_alu instid0(VALU_DEP_2) | instskip(NEXT) | instid1(VALU_DEP_2)
	v_add_f64_e32 v[8:9], v[4:5], v[68:69]
	v_add_f64_e32 v[10:11], v[6:7], v[70:71]
	ds_load_b128 v[72:75], v165 offset:1600
	ds_load_b128 v[4:7], v165 offset:1808
	;; [unrolled: 1-line block ×8, first 2 shown]
	s_wait_dscnt 0x6
	scratch_store_b128 off, v[4:7], off offset:12 ; 16-byte Folded Spill
	ds_load_b128 v[97:100], v165 offset:3200
	ds_load_b128 v[4:7], v165 offset:5008
	s_wait_dscnt 0x4
	v_add_f64_e64 v[121:122], v[70:71], -v[95:96]
	s_wait_dscnt 0x3
	v_add_f64_e64 v[109:110], v[58:59], -v[62:63]
	v_add_f64_e64 v[115:116], v[56:57], -v[60:61]
	s_wait_dscnt 0x2
	v_add_f64_e64 v[117:118], v[66:67], -v[82:83]
	v_add_f64_e64 v[119:120], v[64:65], -v[80:81]
	;; [unrolled: 1-line block ×3, first 2 shown]
	v_add_f64_e32 v[56:57], v[56:57], v[60:61]
	v_add_f64_e32 v[58:59], v[58:59], v[62:63]
	v_add_f64_e32 v[68:69], v[68:69], v[93:94]
	v_add_f64_e32 v[70:71], v[70:71], v[95:96]
	v_add_f64_e32 v[64:65], v[64:65], v[80:81]
	v_add_f64_e32 v[66:67], v[66:67], v[82:83]
	v_add_f64_e32 v[8:9], v[8:9], v[72:73]
	v_add_f64_e32 v[10:11], v[10:11], v[74:75]
	s_wait_dscnt 0x1
	v_add_f64_e32 v[86:87], v[76:77], v[97:98]
	s_wait_dscnt 0x0
	scratch_store_b128 off, v[4:7], off offset:28 ; 16-byte Folded Spill
	ds_load_b128 v[48:51], v165 offset:2608
	ds_load_b128 v[101:104], v165 offset:2800
	v_add_f64_e32 v[84:85], v[78:79], v[99:100]
	v_add_f64_e64 v[125:126], v[76:77], -v[97:98]
	v_add_f64_e64 v[127:128], v[78:79], -v[99:100]
	ds_load_b128 v[105:108], v165 offset:3600
	v_mul_f64_e32 v[153:154], s[18:19], v[121:122]
	v_mul_f64_e32 v[133:134], s[2:3], v[109:110]
	;; [unrolled: 1-line block ×10, first 2 shown]
	s_wait_dscnt 0x0
	v_add_f64_e32 v[131:132], v[74:75], v[107:108]
	v_add_f64_e64 v[74:75], v[74:75], -v[107:108]
	v_add_f64_e32 v[16:17], v[8:9], v[76:77]
	v_add_f64_e32 v[18:19], v[10:11], v[78:79]
	v_add_f64_e32 v[76:77], v[89:90], v[101:102]
	v_add_f64_e32 v[78:79], v[91:92], v[103:104]
	v_mul_f64_e32 v[149:150], s[20:21], v[117:118]
	v_mul_f64_e32 v[151:152], s[20:21], v[119:120]
	;; [unrolled: 1-line block ×23, first 2 shown]
	v_fma_f64 v[198:199], v[56:57], s[12:13], -v[133:134]
	v_fma_f64 v[133:134], v[56:57], s[12:13], v[133:134]
	v_fma_f64 v[200:201], v[56:57], s[24:25], -v[135:136]
	v_fma_f64 v[135:136], v[56:57], s[24:25], v[135:136]
	v_fma_f64 v[202:203], v[56:57], s[22:23], -v[137:138]
	v_fma_f64 v[204:205], v[56:57], s[14:15], -v[109:110]
	v_fma_f64 v[208:209], v[58:59], s[22:23], v[143:144]
	v_fma_f64 v[143:144], v[58:59], s[22:23], -v[143:144]
	v_fma_f64 v[210:211], v[58:59], s[28:29], v[145:146]
	;; [unrolled: 2-line block ×3, first 2 shown]
	v_add_f64_e32 v[111:112], v[16:17], v[89:90]
	v_add_f64_e32 v[113:114], v[18:19], v[91:92]
	v_add_f64_e64 v[89:90], v[89:90], -v[101:102]
	v_add_f64_e64 v[91:92], v[91:92], -v[103:104]
	v_fma_f64 v[147:148], v[58:59], s[16:17], -v[147:148]
	v_add_f64_e32 v[129:130], v[72:73], v[105:106]
	v_add_f64_e64 v[72:73], v[72:73], -v[105:106]
	v_fma_f64 v[216:217], v[66:67], s[24:25], v[151:152]
	v_fma_f64 v[218:219], v[68:69], s[22:23], -v[153:154]
	v_fma_f64 v[220:221], v[64:65], s[28:29], -v[157:158]
	v_fma_f64 v[222:223], v[66:67], s[28:29], v[161:162]
	v_fma_f64 v[224:225], v[68:69], s[14:15], -v[168:169]
	v_fma_f64 v[226:227], v[70:71], s[14:15], v[170:171]
	v_fma_f64 v[157:158], v[64:65], s[28:29], v[157:158]
	v_fma_f64 v[161:162], v[66:67], s[28:29], -v[161:162]
	v_fma_f64 v[168:169], v[68:69], s[14:15], v[168:169]
	v_fma_f64 v[170:171], v[70:71], s[14:15], -v[170:171]
	v_fma_f64 v[228:229], v[64:65], s[14:15], -v[172:173]
	v_fma_f64 v[230:231], v[66:67], s[14:15], v[174:175]
	v_fma_f64 v[232:233], v[68:69], s[28:29], -v[178:179]
	v_fma_f64 v[234:235], v[70:71], s[28:29], v[180:181]
	v_fma_f64 v[172:173], v[64:65], s[14:15], v[172:173]
	v_fma_f64 v[174:175], v[66:67], s[14:15], -v[174:175]
	v_fma_f64 v[236:237], v[68:69], s[12:13], -v[186:187]
	v_fma_f64 v[238:239], v[70:71], s[12:13], v[188:189]
	v_fma_f64 v[186:187], v[68:69], s[12:13], v[186:187]
	v_fma_f64 v[188:189], v[70:71], s[12:13], -v[188:189]
	v_add_f64_e32 v[198:199], v[52:53], v[198:199]
	v_add_f64_e32 v[133:134], v[52:53], v[133:134]
	;; [unrolled: 1-line block ×13, first 2 shown]
	v_mul_f64_e32 v[111:112], s[2:3], v[115:116]
	v_mul_f64_e32 v[113:114], s[20:21], v[115:116]
	;; [unrolled: 1-line block ×3, first 2 shown]
	v_add_f64_e32 v[147:148], v[54:55], v[147:148]
	v_fma_f64 v[240:241], v[70:71], s[16:17], v[123:124]
	v_fma_f64 v[123:124], v[70:71], s[16:17], -v[123:124]
	v_fma_f64 v[242:243], v[70:71], s[22:23], v[155:156]
	v_mul_f64_e32 v[244:245], s[34:35], v[74:75]
	v_mul_f64_e32 v[246:247], s[18:19], v[74:75]
	;; [unrolled: 1-line block ×4, first 2 shown]
	ds_load_b128 v[44:47], v165 offset:3008
	ds_load_b128 v[28:31], v165 offset:4208
	;; [unrolled: 1-line block ×5, first 2 shown]
	global_wb scope:SCOPE_SE
	s_wait_storecnt_dscnt 0x0
	s_barrier_signal -1
	s_barrier_wait -1
	global_inv scope:SCOPE_SE
	v_add_f64_e32 v[135:136], v[157:158], v[135:136]
	v_add_f64_e32 v[157:158], v[228:229], v[202:203]
	;; [unrolled: 1-line block ×3, first 2 shown]
	v_mul_f64_e32 v[174:175], s[34:35], v[72:73]
	v_add_f64_e32 v[97:98], v[101:102], v[97:98]
	v_add_f64_e32 v[99:100], v[103:104], v[99:100]
	v_fma_f64 v[101:102], v[56:57], s[22:23], v[137:138]
	v_fma_f64 v[103:104], v[56:57], s[28:29], -v[139:140]
	v_fma_f64 v[137:138], v[56:57], s[28:29], v[139:140]
	v_fma_f64 v[139:140], v[56:57], s[16:17], -v[141:142]
	v_fma_f64 v[141:142], v[56:57], s[16:17], v[141:142]
	v_fma_f64 v[56:57], v[56:57], s[14:15], v[109:110]
	;; [unrolled: 1-line block ×3, first 2 shown]
	v_fma_f64 v[111:112], v[58:59], s[12:13], -v[111:112]
	v_fma_f64 v[206:207], v[58:59], s[24:25], v[113:114]
	v_fma_f64 v[113:114], v[58:59], s[24:25], -v[113:114]
	v_fma_f64 v[214:215], v[58:59], s[14:15], v[115:116]
	v_fma_f64 v[58:59], v[58:59], s[14:15], -v[115:116]
	v_fma_f64 v[115:116], v[64:65], s[24:25], -v[149:150]
	;; [unrolled: 1-line block ×3, first 2 shown]
	v_fma_f64 v[244:245], v[129:130], s[12:13], v[244:245]
	v_fma_f64 v[166:167], v[129:130], s[22:23], -v[246:247]
	v_fma_f64 v[246:247], v[129:130], s[22:23], v[246:247]
	v_fma_f64 v[8:9], v[129:130], s[14:15], -v[248:249]
	;; [unrolled: 2-line block ×3, first 2 shown]
	v_fma_f64 v[250:251], v[129:130], s[24:25], v[250:251]
	v_add_f64_e32 v[135:136], v[168:169], v[135:136]
	v_add_f64_e32 v[157:158], v[232:233], v[157:158]
	v_mul_f64_e32 v[168:169], s[34:35], v[89:90]
	v_add_f64_e32 v[97:98], v[97:98], v[105:106]
	v_add_f64_e32 v[99:100], v[99:100], v[107:108]
	v_fma_f64 v[105:106], v[68:69], s[28:29], v[178:179]
	v_fma_f64 v[107:108], v[70:71], s[28:29], -v[180:181]
	v_fma_f64 v[178:179], v[64:65], s[16:17], -v[182:183]
	v_fma_f64 v[180:181], v[66:67], s[16:17], v[184:185]
	v_fma_f64 v[182:183], v[64:65], s[16:17], v[182:183]
	v_fma_f64 v[184:185], v[66:67], s[16:17], -v[184:185]
	v_add_f64_e32 v[109:110], v[54:55], v[109:110]
	v_add_f64_e32 v[111:112], v[54:55], v[111:112]
	;; [unrolled: 1-line block ×12, first 2 shown]
	v_fma_f64 v[56:57], v[64:65], s[22:23], -v[190:191]
	v_fma_f64 v[58:59], v[66:67], s[22:23], v[192:193]
	v_add_f64_e32 v[157:158], v[254:255], v[157:158]
	v_mov_b32_e32 v254, v159
	v_add_f64_e32 v[93:94], v[97:98], v[93:94]
	v_add_f64_e32 v[95:96], v[99:100], v[95:96]
	v_fma_f64 v[97:98], v[68:69], s[24:25], -v[194:195]
	v_fma_f64 v[99:100], v[64:65], s[22:23], v[190:191]
	v_fma_f64 v[190:191], v[66:67], s[22:23], -v[192:193]
	v_fma_f64 v[192:193], v[68:69], s[24:25], v[194:195]
	v_fma_f64 v[194:195], v[64:65], s[12:13], -v[117:118]
	v_fma_f64 v[117:118], v[64:65], s[12:13], v[117:118]
	v_fma_f64 v[64:65], v[64:65], s[24:25], v[149:150]
	v_fma_f64 v[149:150], v[66:67], s[12:13], v[119:120]
	v_fma_f64 v[119:120], v[66:67], s[12:13], -v[119:120]
	v_fma_f64 v[66:67], v[66:67], s[24:25], -v[151:152]
	;; [unrolled: 1-line block ×3, first 2 shown]
	v_fma_f64 v[121:122], v[68:69], s[16:17], v[121:122]
	v_fma_f64 v[68:69], v[68:69], s[22:23], v[153:154]
	;; [unrolled: 1-line block ×3, first 2 shown]
	v_fma_f64 v[196:197], v[70:71], s[24:25], -v[196:197]
	v_fma_f64 v[70:71], v[70:71], s[22:23], -v[155:156]
	v_mul_f64_e32 v[155:156], s[30:31], v[74:75]
	v_mul_f64_e32 v[74:75], s[26:27], v[74:75]
	v_add_f64_e32 v[101:102], v[172:173], v[101:102]
	v_add_f64_e32 v[103:104], v[178:179], v[103:104]
	v_mul_f64_e32 v[172:173], s[30:31], v[72:73]
	v_mul_f64_e32 v[178:179], s[18:19], v[72:73]
	v_add_f64_e32 v[113:114], v[161:162], v[113:114]
	v_add_f64_e32 v[161:162], v[230:231], v[208:209]
	v_add_f64_e32 v[109:110], v[216:217], v[109:110]
	v_add_f64_e32 v[145:146], v[184:185], v[145:146]
	v_add_f64_e32 v[56:57], v[56:57], v[139:140]
	v_add_f64_e32 v[58:59], v[58:59], v[212:213]
	v_add_f64_e32 v[137:138], v[182:183], v[137:138]
	v_mul_f64_e32 v[184:185], s[20:21], v[125:126]
	v_add_f64_e32 v[107:108], v[107:108], v[143:144]
	v_mul_f64_e32 v[143:144], s[40:41], v[127:128]
	v_mul_f64_e32 v[182:183], s[34:35], v[91:92]
	v_add_f64_e32 v[80:81], v[93:94], v[80:81]
	v_add_f64_e32 v[82:83], v[95:96], v[82:83]
	;; [unrolled: 1-line block ×4, first 2 shown]
	v_mul_f64_e32 v[190:191], s[10:11], v[91:92]
	v_add_f64_e32 v[141:142], v[194:195], v[204:205]
	v_add_f64_e32 v[52:53], v[117:118], v[52:53]
	;; [unrolled: 1-line block ×6, first 2 shown]
	v_mul_f64_e32 v[149:150], s[36:37], v[127:128]
	v_mul_f64_e32 v[117:118], s[10:11], v[127:128]
	;; [unrolled: 1-line block ×6, first 2 shown]
	v_fma_f64 v[252:253], v[129:130], s[16:17], -v[155:156]
	v_fma_f64 v[4:5], v[129:130], s[28:29], -v[74:75]
	v_fma_f64 v[6:7], v[129:130], s[28:29], v[74:75]
	v_add_f64_e32 v[74:75], v[115:116], v[198:199]
	v_add_f64_e32 v[115:116], v[220:221], v[200:201]
	v_mul_f64_e32 v[198:199], s[40:41], v[72:73]
	v_mul_f64_e32 v[200:201], s[42:43], v[72:73]
	;; [unrolled: 1-line block ×3, first 2 shown]
	v_fma_f64 v[155:156], v[129:130], s[16:17], v[155:156]
	v_add_f64_e32 v[129:130], v[222:223], v[206:207]
	v_fma_f64 v[202:203], v[131:132], s[16:17], v[172:173]
	v_fma_f64 v[172:173], v[131:132], s[16:17], -v[172:173]
	v_fma_f64 v[206:207], v[131:132], s[12:13], v[174:175]
	v_fma_f64 v[174:175], v[131:132], s[12:13], -v[174:175]
	;; [unrolled: 2-line block ×3, first 2 shown]
	v_add_f64_e32 v[113:114], v[170:171], v[113:114]
	v_mul_f64_e32 v[170:171], s[20:21], v[127:128]
	v_add_f64_e32 v[161:162], v[234:235], v[161:162]
	v_add_f64_e32 v[109:110], v[242:243], v[109:110]
	;; [unrolled: 1-line block ×4, first 2 shown]
	v_mul_f64_e32 v[188:189], s[34:35], v[127:128]
	v_add_f64_e32 v[56:57], v[97:98], v[56:57]
	v_mul_f64_e32 v[97:98], s[34:35], v[125:126]
	v_add_f64_e32 v[58:59], v[153:154], v[58:59]
	v_mul_f64_e32 v[127:128], s[26:27], v[127:128]
	v_add_f64_e32 v[139:140], v[196:197], v[139:140]
	v_add_f64_e32 v[141:142], v[151:152], v[141:142]
	v_add_f64_e32 v[147:148], v[240:241], v[147:148]
	;; [unrolled: 1-line block ×9, first 2 shown]
	v_fma_f64 v[123:124], v[86:87], s[22:23], -v[149:150]
	v_mul_f64_e32 v[105:106], s[10:11], v[89:90]
	v_fma_f64 v[214:215], v[84:85], s[24:25], v[184:185]
	v_fma_f64 v[196:197], v[86:87], s[16:17], -v[117:118]
	v_add_f64_e32 v[74:75], v[218:219], v[74:75]
	v_add_f64_e32 v[115:116], v[224:225], v[115:116]
	v_fma_f64 v[216:217], v[131:132], s[14:15], v[198:199]
	v_fma_f64 v[198:199], v[131:132], s[14:15], -v[198:199]
	v_fma_f64 v[220:221], v[131:132], s[24:25], v[200:201]
	v_fma_f64 v[200:201], v[131:132], s[24:25], -v[200:201]
	;; [unrolled: 2-line block ×3, first 2 shown]
	v_add_f64_e32 v[131:132], v[180:181], v[210:211]
	v_mul_f64_e32 v[180:181], s[36:37], v[125:126]
	v_add_f64_e32 v[129:130], v[226:227], v[129:130]
	v_mul_f64_e32 v[125:126], s[26:27], v[125:126]
	v_fma_f64 v[151:152], v[84:85], s[16:17], v[119:120]
	v_mul_f64_e32 v[204:205], s[42:43], v[91:92]
	v_fma_f64 v[212:213], v[86:87], s[24:25], -v[170:171]
	v_add_f64_e32 v[161:162], v[206:207], v[161:162]
	v_mul_f64_e32 v[186:187], s[42:43], v[89:90]
	v_fma_f64 v[149:150], v[86:87], s[22:23], v[149:150]
	v_add_f64_e32 v[135:136], v[155:156], v[135:136]
	v_fma_f64 v[155:156], v[84:85], s[14:15], v[194:195]
	v_add_f64_e32 v[103:104], v[166:167], v[103:104]
	v_mul_f64_e32 v[153:154], s[26:27], v[91:92]
	v_mul_f64_e32 v[192:193], s[26:27], v[89:90]
	v_add_f64_e32 v[113:114], v[172:173], v[113:114]
	v_fma_f64 v[172:173], v[84:85], s[14:15], -v[194:195]
	v_fma_f64 v[194:195], v[86:87], s[12:13], -v[188:189]
	v_fma_f64 v[206:207], v[84:85], s[12:13], v[97:98]
	v_add_f64_e32 v[56:57], v[8:9], v[56:57]
	v_mul_f64_e32 v[91:92], s[36:37], v[91:92]
	v_mul_f64_e32 v[89:90], s[36:37], v[89:90]
	v_fma_f64 v[170:171], v[86:87], s[24:25], v[170:171]
	v_add_f64_e32 v[107:108], v[174:175], v[107:108]
	v_fma_f64 v[174:175], v[86:87], s[12:13], v[188:189]
	v_fma_f64 v[97:98], v[84:85], s[12:13], -v[97:98]
	v_fma_f64 v[166:167], v[86:87], s[28:29], -v[127:128]
	v_fma_f64 v[127:128], v[86:87], s[28:29], v[127:128]
	v_add_f64_e32 v[101:102], v[244:245], v[101:102]
	v_add_f64_e32 v[52:53], v[250:251], v[52:53]
	;; [unrolled: 1-line block ×11, first 2 shown]
	v_fma_f64 v[68:69], v[84:85], s[22:23], v[180:181]
	v_add_f64_e32 v[129:130], v[202:203], v[129:130]
	v_fma_f64 v[202:203], v[86:87], s[14:15], -v[143:144]
	v_fma_f64 v[143:144], v[86:87], s[14:15], v[143:144]
	v_fma_f64 v[188:189], v[84:85], s[28:29], v[125:126]
	v_fma_f64 v[86:87], v[86:87], s[16:17], v[117:118]
	v_add_f64_e32 v[117:118], v[198:199], v[139:140]
	v_add_f64_e32 v[139:140], v[176:177], v[141:142]
	;; [unrolled: 1-line block ×3, first 2 shown]
	v_fma_f64 v[180:181], v[84:85], s[22:23], -v[180:181]
	v_fma_f64 v[125:126], v[84:85], s[28:29], -v[125:126]
	;; [unrolled: 1-line block ×3, first 2 shown]
	v_add_f64_e32 v[6:7], v[6:7], v[64:65]
	v_add_f64_e32 v[64:65], v[72:73], v[66:67]
	v_fma_f64 v[84:85], v[84:85], s[16:17], -v[119:120]
	v_fma_f64 v[70:71], v[76:77], s[12:13], -v[182:183]
	v_fma_f64 v[74:75], v[78:79], s[12:13], v[168:169]
	v_add_f64_e32 v[119:120], v[214:215], v[161:162]
	v_fma_f64 v[210:211], v[76:77], s[14:15], -v[111:112]
	v_fma_f64 v[121:122], v[78:79], s[14:15], v[133:134]
	v_add_f64_e32 v[93:94], v[149:150], v[135:136]
	v_fma_f64 v[147:148], v[76:77], s[24:25], -v[204:205]
	v_fma_f64 v[149:150], v[78:79], s[24:25], v[186:187]
	v_fma_f64 v[159:160], v[76:77], s[28:29], -v[153:154]
	v_fma_f64 v[161:162], v[78:79], s[28:29], v[192:193]
	v_fma_f64 v[153:154], v[76:77], s[28:29], v[153:154]
	;; [unrolled: 1-line block ×3, first 2 shown]
	v_add_f64_e32 v[101:102], v[170:171], v[101:102]
	v_add_f64_e32 v[127:128], v[127:128], v[52:53]
	;; [unrolled: 1-line block ×5, first 2 shown]
	v_fma_f64 v[123:124], v[76:77], s[16:17], -v[190:191]
	v_add_f64_e32 v[157:158], v[206:207], v[58:59]
	v_fma_f64 v[170:171], v[78:79], s[22:23], -v[89:90]
	v_add_f64_e32 v[66:67], v[151:152], v[109:110]
	v_fma_f64 v[109:110], v[76:77], s[12:13], v[182:183]
	v_add_f64_e32 v[131:132], v[208:209], v[131:132]
	v_add_f64_e32 v[99:100], v[174:175], v[99:100]
	;; [unrolled: 1-line block ×3, first 2 shown]
	v_fma_f64 v[129:130], v[78:79], s[16:17], v[105:106]
	v_add_f64_e32 v[103:104], v[202:203], v[103:104]
	v_add_f64_e32 v[137:138], v[143:144], v[137:138]
	v_add_f64_e32 v[143:144], v[172:173], v[145:146]
	v_add_f64_e32 v[117:118], v[97:98], v[117:118]
	v_add_f64_e32 v[97:98], v[166:167], v[139:140]
	v_add_f64_e32 v[139:140], v[188:189], v[141:142]
	v_fma_f64 v[141:142], v[76:77], s[22:23], -v[91:92]
	v_fma_f64 v[166:167], v[78:79], s[22:23], v[89:90]
	v_add_f64_e32 v[95:96], v[180:181], v[113:114]
	v_fma_f64 v[113:114], v[78:79], s[12:13], -v[168:169]
	v_add_f64_e32 v[125:126], v[125:126], v[54:55]
	v_fma_f64 v[168:169], v[76:77], s[22:23], v[91:92]
	v_fma_f64 v[172:173], v[78:79], s[28:29], -v[192:193]
	v_fma_f64 v[145:146], v[76:77], s[24:25], v[204:205]
	v_fma_f64 v[151:152], v[78:79], s[24:25], -v[186:187]
	v_add_f64_e32 v[107:108], v[184:185], v[107:108]
	v_fma_f64 v[105:106], v[78:79], s[16:17], -v[105:106]
	v_add_f64_e32 v[6:7], v[86:87], v[6:7]
	v_add_f64_e32 v[174:175], v[84:85], v[64:65]
	v_fma_f64 v[111:112], v[76:77], s[14:15], v[111:112]
	v_fma_f64 v[133:134], v[78:79], s[14:15], -v[133:134]
	v_add_f64_e32 v[52:53], v[80:81], v[60:61]
	v_add_f64_e32 v[54:55], v[82:83], v[62:63]
	;; [unrolled: 1-line block ×14, first 2 shown]
	v_mad_u32_u24 v4, 0xd0, v164, v88
	v_add_f64_e32 v[89:90], v[141:142], v[97:98]
	v_add_f64_e32 v[91:92], v[166:167], v[139:140]
	;; [unrolled: 1-line block ×14, first 2 shown]
	ds_store_b128 v4, v[60:63] offset:32
	ds_store_b128 v4, v[68:71] offset:48
	ds_store_b128 v4, v[52:55]
	ds_store_b128 v4, v[56:59] offset:16
	ds_store_b128 v4, v[76:79] offset:64
	;; [unrolled: 1-line block ×10, first 2 shown]
	v_cmpx_gt_u32_e32 12, v164
	s_cbranch_execz .LBB0_15
; %bb.14:
	s_clause 0x1
	scratch_load_b128 v[8:11], off, off offset:12 th:TH_LOAD_LU
	scratch_load_b128 v[244:247], off, off offset:28 th:TH_LOAD_LU
	v_add_f64_e32 v[4:5], v[2:3], v[22:23]
	v_add_f64_e32 v[6:7], v[0:1], v[20:21]
	;; [unrolled: 1-line block ×4, first 2 shown]
	v_add_f64_e64 v[78:79], v[14:15], -v[30:31]
	v_add_f64_e64 v[82:83], v[12:13], -v[28:29]
	;; [unrolled: 1-line block ×3, first 2 shown]
	v_add_f64_e32 v[90:91], v[12:13], v[28:29]
	v_add_f64_e64 v[54:55], v[36:37], -v[40:41]
	v_add_f64_e32 v[56:57], v[36:37], v[40:41]
	v_add_f64_e32 v[58:59], v[50:51], v[46:47]
	;; [unrolled: 1-line block ×3, first 2 shown]
	v_add_f64_e64 v[62:63], v[50:51], -v[46:47]
	v_add_f64_e64 v[64:65], v[38:39], -v[42:43]
	v_add_f64_e32 v[52:53], v[48:49], v[44:45]
	v_add_f64_e32 v[4:5], v[4:5], v[26:27]
	;; [unrolled: 1-line block ×3, first 2 shown]
	v_add_f64_e64 v[26:27], v[26:27], -v[18:19]
	v_add_f64_e32 v[24:25], v[24:25], v[16:17]
	v_mul_f64_e32 v[94:95], s[16:17], v[68:69]
	v_mul_f64_e32 v[96:97], s[12:13], v[70:71]
	;; [unrolled: 1-line block ×26, first 2 shown]
	v_add_f64_e32 v[4:5], v[4:5], v[14:15]
	v_add_f64_e32 v[6:7], v[6:7], v[12:13]
	v_mul_f64_e32 v[148:149], s[34:35], v[26:27]
	v_mul_f64_e32 v[150:151], s[36:37], v[26:27]
	;; [unrolled: 1-line block ×6, first 2 shown]
	v_fma_f64 v[190:191], v[82:83], s[30:31], v[94:95]
	v_fma_f64 v[192:193], v[84:85], s[2:3], v[96:97]
	;; [unrolled: 1-line block ×16, first 2 shown]
	v_fma_f64 v[160:161], v[90:91], s[24:25], -v[160:161]
	v_fma_f64 v[238:239], v[24:25], s[12:13], v[148:149]
	v_fma_f64 v[250:251], v[24:25], s[14:15], v[154:155]
	v_fma_f64 v[154:155], v[24:25], s[14:15], -v[154:155]
	v_fma_f64 v[248:249], v[24:25], s[16:17], v[152:153]
	v_fma_f64 v[152:153], v[24:25], s[16:17], -v[152:153]
	s_wait_loadcnt 0x1
	v_add_f64_e32 v[4:5], v[4:5], v[10:11]
	s_wait_loadcnt 0x0
	v_add_f64_e32 v[72:73], v[22:23], v[246:247]
	v_add_f64_e64 v[76:77], v[22:23], -v[246:247]
	v_add_f64_e32 v[6:7], v[6:7], v[8:9]
	v_add_f64_e32 v[66:67], v[10:11], v[34:35]
	v_add_f64_e64 v[74:75], v[10:11], -v[34:35]
	v_add_f64_e64 v[86:87], v[20:21], -v[244:245]
	v_add_f64_e32 v[20:21], v[20:21], v[244:245]
	v_add_f64_e64 v[80:81], v[8:9], -v[32:33]
	v_add_f64_e32 v[88:89], v[8:9], v[32:33]
	;; [unrolled: 2-line block ×3, first 2 shown]
	v_mul_f64_e32 v[98:99], s[14:15], v[72:73]
	v_mul_f64_e32 v[102:103], s[6:7], v[76:77]
	;; [unrolled: 1-line block ×12, first 2 shown]
	v_add_f64_e32 v[6:7], v[6:7], v[36:37]
	v_mul_f64_e32 v[92:93], s[24:25], v[66:67]
	v_mul_f64_e32 v[100:101], s[42:43], v[74:75]
	;; [unrolled: 1-line block ×12, first 2 shown]
	v_fma_f64 v[38:39], v[84:85], s[30:31], v[120:121]
	v_fma_f64 v[120:121], v[84:85], s[40:41], v[132:133]
	;; [unrolled: 1-line block ×3, first 2 shown]
	v_add_f64_e32 v[4:5], v[4:5], v[50:51]
	v_fma_f64 v[194:195], v[86:87], s[40:41], v[98:99]
	v_fma_f64 v[198:199], v[20:21], s[14:15], v[102:103]
	;; [unrolled: 1-line block ×3, first 2 shown]
	v_fma_f64 v[102:103], v[20:21], s[14:15], -v[102:103]
	v_fma_f64 v[206:207], v[86:87], s[30:31], v[110:111]
	v_fma_f64 v[210:211], v[20:21], s[16:17], v[114:115]
	;; [unrolled: 1-line block ×3, first 2 shown]
	v_fma_f64 v[114:115], v[20:21], s[16:17], -v[114:115]
	v_fma_f64 v[218:219], v[86:87], s[38:39], v[122:123]
	v_fma_f64 v[122:123], v[86:87], s[26:27], v[122:123]
	;; [unrolled: 1-line block ×7, first 2 shown]
	v_fma_f64 v[14:15], v[20:21], s[24:25], -v[14:15]
	v_fma_f64 v[226:227], v[20:21], s[22:23], v[138:139]
	v_fma_f64 v[138:139], v[20:21], s[22:23], -v[138:139]
	v_fma_f64 v[222:223], v[20:21], s[28:29], v[126:127]
	;; [unrolled: 2-line block ×3, first 2 shown]
	v_fma_f64 v[234:235], v[20:21], s[12:13], v[76:77]
	v_fma_f64 v[36:37], v[86:87], s[2:3], v[72:73]
	v_fma_f64 v[20:21], v[20:21], s[12:13], -v[76:77]
	v_add_f64_e32 v[6:7], v[6:7], v[48:49]
	v_fma_f64 v[188:189], v[80:81], s[20:21], v[92:93]
	v_fma_f64 v[196:197], v[88:89], s[24:25], v[100:101]
	v_fma_f64 v[92:93], v[80:81], s[42:43], v[92:93]
	v_fma_f64 v[100:101], v[88:89], s[24:25], -v[100:101]
	v_fma_f64 v[200:201], v[80:81], s[6:7], v[104:105]
	v_fma_f64 v[208:209], v[88:89], s[14:15], v[112:113]
	v_fma_f64 v[104:105], v[80:81], s[40:41], v[104:105]
	v_fma_f64 v[112:113], v[88:89], s[14:15], -v[112:113]
	;; [unrolled: 4-line block ×3, first 2 shown]
	v_fma_f64 v[76:77], v[80:81], s[2:3], v[128:129]
	v_fma_f64 v[86:87], v[82:83], s[26:27], v[130:131]
	;; [unrolled: 1-line block ×5, first 2 shown]
	v_fma_f64 v[136:137], v[88:89], s[12:13], -v[136:137]
	v_fma_f64 v[236:237], v[80:81], s[10:11], v[140:141]
	v_fma_f64 v[8:9], v[88:89], s[16:17], v[12:13]
	;; [unrolled: 1-line block ×3, first 2 shown]
	v_fma_f64 v[12:13], v[88:89], s[16:17], -v[12:13]
	v_fma_f64 v[10:11], v[80:81], s[38:39], v[66:67]
	v_fma_f64 v[66:67], v[80:81], s[26:27], v[66:67]
	;; [unrolled: 1-line block ×7, first 2 shown]
	v_fma_f64 v[74:75], v[88:89], s[28:29], -v[74:75]
	v_fma_f64 v[88:89], v[24:25], s[12:13], -v[148:149]
	v_fma_f64 v[148:149], v[24:25], s[22:23], v[150:151]
	v_fma_f64 v[150:151], v[24:25], s[22:23], -v[150:151]
	v_fma_f64 v[50:51], v[24:25], s[28:29], -v[156:157]
	v_add_f64_e32 v[194:195], v[2:3], v[194:195]
	v_add_f64_e32 v[98:99], v[2:3], v[98:99]
	;; [unrolled: 1-line block ×18, first 2 shown]
	v_fma_f64 v[48:49], v[24:25], s[28:29], v[156:157]
	v_add_f64_e32 v[228:229], v[2:3], v[228:229]
	v_add_f64_e32 v[230:231], v[0:1], v[230:231]
	v_fma_f64 v[156:157], v[24:25], s[24:25], v[26:27]
	v_fma_f64 v[24:25], v[24:25], s[24:25], -v[26:27]
	v_add_f64_e32 v[232:233], v[2:3], v[232:233]
	v_add_f64_e32 v[234:235], v[0:1], v[234:235]
	;; [unrolled: 1-line block ×6, first 2 shown]
	v_fma_f64 v[26:27], v[90:91], s[16:17], v[158:159]
	v_fma_f64 v[158:159], v[90:91], s[16:17], -v[158:159]
	v_fma_f64 v[46:47], v[90:91], s[14:15], -v[170:171]
	v_fma_f64 v[20:21], v[90:91], s[12:13], v[166:167]
	v_fma_f64 v[36:37], v[90:91], s[12:13], -v[166:167]
	v_fma_f64 v[166:167], v[90:91], s[28:29], v[168:169]
	;; [unrolled: 2-line block ×3, first 2 shown]
	v_fma_f64 v[170:171], v[90:91], s[22:23], v[78:79]
	v_add_f64_e32 v[192:193], v[192:193], v[194:195]
	v_add_f64_e32 v[96:97], v[96:97], v[98:99]
	;; [unrolled: 1-line block ×18, first 2 shown]
	v_fma_f64 v[78:79], v[90:91], s[22:23], -v[78:79]
	v_add_f64_e32 v[228:229], v[242:243], v[228:229]
	v_add_f64_e32 v[48:49], v[48:49], v[230:231]
	v_mul_f64_e32 v[194:195], s[14:15], v[60:61]
	v_mul_f64_e32 v[98:99], s[40:41], v[64:65]
	v_add_f64_e32 v[82:83], v[82:83], v[232:233]
	v_mul_f64_e32 v[206:207], s[24:25], v[60:61]
	v_add_f64_e32 v[2:3], v[70:71], v[2:3]
	v_add_f64_e32 v[0:1], v[24:25], v[0:1]
	;; [unrolled: 1-line block ×5, first 2 shown]
	v_mul_f64_e32 v[110:111], s[20:21], v[64:65]
	v_mul_f64_e32 v[218:219], s[22:23], v[60:61]
	;; [unrolled: 1-line block ×8, first 2 shown]
	v_add_f64_e32 v[190:191], v[190:191], v[192:193]
	v_add_f64_e32 v[94:95], v[94:95], v[96:97]
	;; [unrolled: 1-line block ×18, first 2 shown]
	v_mul_f64_e32 v[248:249], s[34:35], v[62:63]
	v_add_f64_e32 v[126:127], v[240:241], v[228:229]
	v_add_f64_e32 v[44:45], v[44:45], v[48:49]
	v_mul_f64_e32 v[58:59], s[14:15], v[58:59]
	v_fma_f64 v[224:225], v[54:55], s[38:39], v[174:175]
	v_add_f64_e32 v[48:49], v[80:81], v[82:83]
	v_fma_f64 v[154:155], v[56:57], s[28:29], v[178:179]
	v_add_f64_e32 v[2:3], v[68:69], v[2:3]
	v_add_f64_e32 v[0:1], v[78:79], v[0:1]
	;; [unrolled: 1-line block ×5, first 2 shown]
	v_fma_f64 v[174:175], v[54:55], s[26:27], v[174:175]
	v_fma_f64 v[178:179], v[56:57], s[28:29], -v[178:179]
	v_fma_f64 v[50:51], v[54:55], s[2:3], v[182:183]
	v_fma_f64 v[242:243], v[56:57], s[12:13], v[186:187]
	v_fma_f64 v[42:43], v[54:55], s[34:35], v[182:183]
	v_fma_f64 v[156:157], v[56:57], s[12:13], -v[186:187]
	v_fma_f64 v[182:183], v[54:55], s[6:7], v[194:195]
	v_fma_f64 v[186:187], v[56:57], s[14:15], v[98:99]
	;; [unrolled: 4-line block ×5, first 2 shown]
	v_fma_f64 v[60:61], v[56:57], s[16:17], v[64:65]
	v_fma_f64 v[56:57], v[56:57], s[16:17], -v[64:65]
	v_add_f64_e32 v[64:65], v[188:189], v[190:191]
	v_add_f64_e32 v[92:93], v[92:93], v[94:95]
	;; [unrolled: 1-line block ×9, first 2 shown]
	v_mul_f64_e32 v[210:211], s[10:11], v[62:63]
	v_add_f64_e32 v[108:109], v[128:129], v[118:119]
	v_add_f64_e32 v[14:15], v[136:137], v[46:47]
	v_mul_f64_e32 v[238:239], s[42:43], v[62:63]
	v_add_f64_e32 v[26:27], v[196:197], v[26:27]
	v_add_f64_e32 v[38:39], v[116:117], v[38:39]
	;; [unrolled: 1-line block ×3, first 2 shown]
	v_mul_f64_e32 v[62:63], s[6:7], v[62:63]
	v_add_f64_e32 v[106:107], v[212:213], v[114:115]
	v_add_f64_e32 v[20:21], v[220:221], v[20:21]
	;; [unrolled: 1-line block ×12, first 2 shown]
	v_fma_f64 v[152:153], v[22:23], s[18:19], v[172:173]
	v_fma_f64 v[172:173], v[22:23], s[36:37], v[172:173]
	;; [unrolled: 1-line block ×10, first 2 shown]
	v_fma_f64 v[116:117], v[52:53], s[12:13], -v[248:249]
	v_fma_f64 v[118:119], v[22:23], s[40:41], v[58:59]
	v_fma_f64 v[58:59], v[22:23], s[6:7], v[58:59]
	v_add_f64_e32 v[22:23], v[224:225], v[64:65]
	v_add_f64_e32 v[50:51], v[50:51], v[94:95]
	;; [unrolled: 1-line block ×5, first 2 shown]
	v_fma_f64 v[84:85], v[52:53], s[16:17], -v[210:211]
	v_add_f64_e32 v[30:31], v[174:175], v[92:93]
	v_add_f64_e32 v[68:69], v[68:69], v[108:109]
	;; [unrolled: 1-line block ×3, first 2 shown]
	v_fma_f64 v[134:135], v[52:53], s[22:23], v[176:177]
	v_fma_f64 v[230:231], v[52:53], s[24:25], -v[238:239]
	v_add_f64_e32 v[26:27], v[154:155], v[26:27]
	v_add_f64_e32 v[38:39], v[194:195], v[38:39]
	;; [unrolled: 1-line block ×3, first 2 shown]
	v_fma_f64 v[176:177], v[52:53], s[22:23], -v[176:177]
	v_fma_f64 v[250:251], v[52:53], s[28:29], v[184:185]
	v_fma_f64 v[70:71], v[52:53], s[28:29], -v[184:185]
	v_fma_f64 v[184:185], v[52:53], s[24:25], v[238:239]
	v_fma_f64 v[74:75], v[52:53], s[16:17], v[210:211]
	;; [unrolled: 1-line block ×4, first 2 shown]
	v_fma_f64 v[52:53], v[52:53], s[14:15], -v[62:63]
	v_add_f64_e32 v[62:63], v[178:179], v[88:89]
	v_add_f64_e32 v[42:43], v[42:43], v[100:101]
	v_add_f64_e32 v[88:89], v[156:157], v[104:105]
	v_add_f64_e32 v[92:93], v[182:183], v[106:107]
	v_add_f64_e32 v[20:21], v[186:187], v[20:21]
	v_add_f64_e32 v[46:47], v[32:33], v[46:47]
	v_add_f64_e32 v[72:73], v[34:35], v[72:73]
	v_add_f64_e32 v[76:77], v[80:81], v[76:77]
	v_add_f64_e32 v[44:45], v[82:83], v[44:45]
	v_add_f64_e32 v[48:49], v[132:133], v[48:49]
	v_add_f64_e32 v[54:55], v[54:55], v[2:3]
	v_add_f64_e32 v[56:57], v[56:57], v[0:1]
	v_add_f64_e32 v[80:81], v[4:5], v[18:19]
	v_add_f64_e32 v[82:83], v[6:7], v[16:17]
	v_add_f64_e32 v[60:61], v[60:61], v[24:25]
	v_add_f64_e32 v[2:3], v[152:153], v[22:23]
	v_add_f64_e32 v[14:15], v[146:147], v[50:51]
	v_add_f64_e32 v[34:35], v[114:115], v[94:95]
	v_add_f64_e32 v[32:33], v[116:117], v[96:97]
	v_add_f64_e32 v[6:7], v[172:173], v[30:31]
	v_add_f64_e32 v[30:31], v[28:29], v[68:69]
	v_add_f64_e32 v[28:29], v[84:85], v[78:79]
	v_add_f64_e32 v[0:1], v[134:135], v[26:27]
	v_add_f64_e32 v[26:27], v[90:91], v[38:39]
	v_add_f64_e32 v[24:25], v[230:231], v[36:37]
	v_add_f64_e32 v[12:13], v[250:251], v[64:65]
	v_add_f64_e32 v[4:5], v[176:177], v[62:63]
	v_add_f64_e32 v[18:19], v[40:41], v[42:43]
	v_add_f64_e32 v[16:17], v[70:71], v[88:89]
	v_add_f64_e32 v[22:23], v[180:181], v[92:93]
	v_add_f64_e32 v[20:21], v[184:185], v[20:21]
	v_add_f64_e32 v[38:39], v[66:67], v[46:47]
	v_add_f64_e32 v[36:37], v[74:75], v[72:73]
	v_add_f64_e32 v[42:43], v[86:87], v[76:77]
	v_add_f64_e32 v[40:41], v[102:103], v[44:45]
	v_add_f64_e32 v[46:47], v[118:119], v[48:49]
	v_add_f64_e32 v[50:51], v[58:59], v[54:55]
	v_add_f64_e32 v[48:49], v[52:53], v[56:57]
	v_add_f64_e32 v[10:11], v[80:81], v[246:247]
	v_add_f64_e32 v[8:9], v[82:83], v[244:245]
	v_add_f64_e32 v[44:45], v[120:121], v[60:61]
	v_mul_i32_i24_e32 v52, 0xd0, v163
	s_delay_alu instid0(VALU_DEP_1)
	v_add3_u32 v52, 0, v52, v254
	ds_store_b128 v52, v[32:35] offset:32
	ds_store_b128 v52, v[28:31] offset:48
	;; [unrolled: 1-line block ×11, first 2 shown]
	ds_store_b128 v52, v[8:11]
	ds_store_b128 v52, v[44:47] offset:192
.LBB0_15:
	s_wait_alu 0xfffe
	s_or_b32 exec_lo, exec_lo, s1
	v_dual_mov_b32 v169, 0 :: v_dual_add_nc_u32 v184, 26, v164
	v_lshlrev_b32_e32 v168, 2, v164
	v_add_nc_u32_e32 v180, 39, v164
	v_add_nc_u32_e32 v179, 52, v164
	s_delay_alu instid0(VALU_DEP_4)
	v_and_b32_e32 v0, 0xff, v184
	global_wb scope:SCOPE_SE
	s_wait_dscnt 0x0
	s_barrier_signal -1
	v_and_b32_e32 v3, 0xff, v180
	v_and_b32_e32 v4, 0xff, v179
	v_mul_lo_u16 v2, 0x4f, v0
	v_lshlrev_b64_e32 v[0:1], 4, v[168:169]
	s_barrier_wait -1
	global_inv scope:SCOPE_SE
	v_lshlrev_b32_e32 v160, 4, v163
	v_lshrrev_b16 v2, 10, v2
	v_lshlrev_b32_e32 v168, 2, v163
	v_add_co_u32 v170, s0, s4, v0
	v_mul_lo_u16 v0, 0x4f, v3
	s_wait_alu 0xf1ff
	v_add_co_ci_u32_e64 v171, s0, s5, v1, s0
	v_mul_lo_u16 v1, v2, 13
	v_mul_lo_u16 v2, 0x4f, v4
	v_lshrrev_b16 v0, 10, v0
	s_clause 0x1
	global_load_b128 v[16:19], v[170:171], off
	global_load_b128 v[20:23], v[170:171], off offset:16
	v_sub_nc_u16 v1, v184, v1
	v_lshrrev_b16 v2, 10, v2
	v_mul_lo_u16 v0, v0, 13
	s_clause 0x1
	global_load_b128 v[28:31], v[170:171], off offset:32
	global_load_b128 v[24:27], v[170:171], off offset:48
	v_add3_u32 v178, 0, v160, v254
	v_and_b32_e32 v181, 0xff, v1
	v_mul_lo_u16 v1, v2, 13
	v_sub_nc_u16 v0, v180, v0
	s_mov_b32 s10, 0x134454ff
	s_mov_b32 s11, 0x3fee6f0e
	v_lshlrev_b32_e32 v2, 6, v181
	s_mov_b32 s15, 0xbfee6f0e
	v_and_b32_e32 v182, 0xff, v0
	v_sub_nc_u16 v0, v179, v1
	s_clause 0x2
	global_load_b128 v[40:43], v2, s[4:5]
	global_load_b128 v[36:39], v2, s[4:5] offset:16
	global_load_b128 v[32:35], v2, s[4:5] offset:32
	v_lshlrev_b32_e32 v1, 6, v182
	v_and_b32_e32 v183, 0xff, v0
	s_clause 0x2
	global_load_b128 v[60:63], v2, s[4:5] offset:48
	global_load_b128 v[56:59], v1, s[4:5]
	global_load_b128 v[48:51], v1, s[4:5] offset:16
	s_wait_alu 0xfffe
	s_mov_b32 s14, s10
	v_lshlrev_b32_e32 v0, 6, v183
	s_clause 0x5
	global_load_b128 v[52:55], v1, s[4:5] offset:32
	global_load_b128 v[44:47], v1, s[4:5] offset:48
	global_load_b128 v[76:79], v0, s[4:5]
	global_load_b128 v[72:75], v0, s[4:5] offset:16
	global_load_b128 v[68:71], v0, s[4:5] offset:32
	;; [unrolled: 1-line block ×3, first 2 shown]
	ds_load_b128 v[152:155], v165 offset:1040
	ds_load_b128 v[120:123], v165 offset:1248
	;; [unrolled: 1-line block ×4, first 2 shown]
	scratch_load_b32 v249, off, off offset:8 ; 4-byte Folded Reload
	s_mov_b32 s2, 0x4755a5e
	s_mov_b32 s3, 0x3fe2cf23
	;; [unrolled: 1-line block ×3, first 2 shown]
	s_wait_alu 0xfffe
	s_mov_b32 s12, s2
	s_mov_b32 s6, 0x372fe950
	;; [unrolled: 1-line block ×3, first 2 shown]
	s_wait_loadcnt 0x0
	ds_load_b128 v[12:15], v249
	ds_load_b128 v[8:11], v165 offset:416
	ds_load_b128 v[136:139], v165 offset:2288
	;; [unrolled: 1-line block ×19, first 2 shown]
	s_wait_dscnt 0x17
	v_mul_f64_e32 v[172:173], v[154:155], v[18:19]
	v_mul_f64_e32 v[174:175], v[152:153], v[18:19]
	s_wait_dscnt 0x16
	v_mul_f64_e32 v[185:186], v[122:123], v[18:19]
	v_mul_f64_e32 v[187:188], v[120:121], v[18:19]
	;; [unrolled: 3-line block ×4, first 2 shown]
	v_mul_f64_e32 v[199:200], v[114:115], v[30:31]
	v_mul_f64_e32 v[201:202], v[112:113], v[30:31]
	s_wait_dscnt 0xf
	v_mul_f64_e32 v[203:204], v[126:127], v[26:27]
	v_mul_f64_e32 v[205:206], v[124:125], v[26:27]
	s_wait_dscnt 0x7
	v_mul_f64_e32 v[166:167], v[158:159], v[22:23]
	v_mul_f64_e32 v[176:177], v[156:157], v[22:23]
	;; [unrolled: 1-line block ×4, first 2 shown]
	s_wait_dscnt 0x3
	v_mul_f64_e32 v[191:192], v[144:145], v[26:27]
	v_mul_f64_e32 v[193:194], v[146:147], v[26:27]
	;; [unrolled: 1-line block ×14, first 2 shown]
	s_wait_dscnt 0x1
	v_mul_f64_e32 v[221:222], v[142:143], v[46:47]
	v_mul_f64_e32 v[46:47], v[140:141], v[46:47]
	;; [unrolled: 1-line block ×6, first 2 shown]
	ds_load_b128 v[160:163], v178
	v_lshlrev_b64_e32 v[30:31], 4, v[168:169]
	v_fma_f64 v[152:153], v[152:153], v[16:17], -v[172:173]
	v_fma_f64 v[154:155], v[154:155], v[16:17], v[174:175]
	v_mul_f64_e32 v[172:173], v[106:107], v[70:71]
	v_mul_f64_e32 v[70:71], v[104:105], v[70:71]
	v_fma_f64 v[26:27], v[148:149], v[28:29], -v[18:19]
	v_fma_f64 v[22:23], v[150:151], v[28:29], v[189:190]
	v_fma_f64 v[120:121], v[120:121], v[16:17], -v[185:186]
	v_fma_f64 v[16:17], v[122:123], v[16:17], v[187:188]
	v_fma_f64 v[122:123], v[136:137], v[20:21], -v[195:196]
	v_fma_f64 v[112:113], v[112:113], v[28:29], -v[199:200]
	v_fma_f64 v[28:29], v[114:115], v[28:29], v[201:202]
	v_fma_f64 v[114:115], v[124:125], v[24:25], -v[203:204]
	v_fma_f64 v[156:157], v[156:157], v[20:21], -v[166:167]
	v_fma_f64 v[158:159], v[158:159], v[20:21], v[176:177]
	s_wait_dscnt 0x1
	v_mul_f64_e32 v[166:167], v[110:111], v[66:67]
	v_mul_f64_e32 v[66:67], v[108:109], v[66:67]
	v_fma_f64 v[18:19], v[146:147], v[24:25], v[191:192]
	v_fma_f64 v[144:145], v[144:145], v[24:25], -v[193:194]
	v_fma_f64 v[20:21], v[138:139], v[20:21], v[197:198]
	v_fma_f64 v[24:25], v[126:127], v[24:25], v[205:206]
	v_fma_f64 v[124:125], v[128:129], v[40:41], -v[207:208]
	v_fma_f64 v[40:41], v[130:131], v[40:41], v[42:43]
	v_fma_f64 v[42:43], v[100:101], v[36:37], -v[209:210]
	;; [unrolled: 2-line block ×11, first 2 shown]
	v_fma_f64 v[68:69], v[106:107], v[68:69], v[70:71]
	v_add_f64_e32 v[96:97], v[14:15], v[154:155]
	v_lshlrev_b32_e32 v168, 2, v184
	s_wait_dscnt 0x0
	v_add_f64_e32 v[118:119], v[160:161], v[120:121]
	v_add_f64_e32 v[142:143], v[162:163], v[16:17]
	v_add_f64_e64 v[132:133], v[120:121], -v[122:123]
	v_add_f64_e32 v[126:127], v[122:123], v[112:113]
	v_add_f64_e64 v[138:139], v[122:123], -v[120:121]
	v_add_f64_e32 v[136:137], v[120:121], v[114:115]
	v_add_f64_e32 v[80:81], v[156:157], v[26:27]
	;; [unrolled: 1-line block ×3, first 2 shown]
	v_fma_f64 v[70:71], v[108:109], v[64:65], -v[166:167]
	v_fma_f64 v[64:65], v[110:111], v[64:65], v[66:67]
	v_add_f64_e64 v[82:83], v[154:155], -v[18:19]
	v_add_f64_e32 v[90:91], v[152:153], v[144:145]
	v_add_f64_e64 v[104:105], v[154:155], -v[158:159]
	v_add_f64_e32 v[108:109], v[154:155], v[18:19]
	;; [unrolled: 2-line block ×3, first 2 shown]
	v_add_f64_e32 v[154:155], v[16:17], v[24:25]
	v_add_f64_e64 v[92:93], v[156:157], -v[152:153]
	v_add_f64_e64 v[94:95], v[26:27], -v[144:145]
	v_add_f64_e32 v[66:67], v[12:13], v[152:153]
	v_add_f64_e64 v[86:87], v[152:153], -v[156:157]
	v_add_f64_e64 v[88:89], v[144:145], -v[26:27]
	;; [unrolled: 1-line block ×9, first 2 shown]
	v_add_f64_e32 v[172:173], v[8:9], v[124:125]
	v_add_f64_e32 v[174:175], v[42:43], v[38:39]
	;; [unrolled: 1-line block ×6, first 2 shown]
	v_add_f64_e64 v[116:117], v[22:23], -v[18:19]
	v_add_f64_e64 v[176:177], v[40:41], -v[60:61]
	;; [unrolled: 1-line block ×9, first 2 shown]
	v_add_f64_e32 v[210:211], v[4:5], v[62:63]
	v_add_f64_e32 v[212:213], v[58:59], v[50:51]
	;; [unrolled: 1-line block ×6, first 2 shown]
	v_add_f64_e64 v[134:135], v[114:115], -v[112:113]
	v_add_f64_e64 v[140:141], v[112:113], -v[114:115]
	v_add_f64_e32 v[238:239], v[0:1], v[46:47]
	v_add_f64_e32 v[240:241], v[78:79], v[74:75]
	v_fma_f64 v[80:81], v[80:81], -0.5, v[12:13]
	v_fma_f64 v[12:13], v[90:91], -0.5, v[12:13]
	;; [unrolled: 1-line block ×4, first 2 shown]
	v_add_f64_e64 v[98:99], v[78:79], -v[46:47]
	v_add_f64_e64 v[108:109], v[74:75], -v[70:71]
	v_fma_f64 v[126:127], v[126:127], -0.5, v[160:161]
	v_fma_f64 v[136:137], v[136:137], -0.5, v[160:161]
	;; [unrolled: 1-line block ×4, first 2 shown]
	v_add_f64_e32 v[160:161], v[2:3], v[76:77]
	v_add_f64_e32 v[162:163], v[72:73], v[68:69]
	;; [unrolled: 1-line block ×7, first 2 shown]
	v_add_f64_e64 v[84:85], v[158:159], -v[22:23]
	v_add_f64_e64 v[102:103], v[156:157], -v[26:27]
	;; [unrolled: 1-line block ×3, first 2 shown]
	v_add_f64_e32 v[86:87], v[86:87], v[88:89]
	v_add_f64_e64 v[88:89], v[64:65], -v[68:69]
	v_add_f64_e64 v[158:159], v[72:73], -v[76:77]
	v_add_f64_e32 v[104:105], v[104:105], v[106:107]
	v_add_f64_e64 v[106:107], v[68:69], -v[64:65]
	v_add_f64_e64 v[130:131], v[20:21], -v[28:29]
	;; [unrolled: 1-line block ×3, first 2 shown]
	v_add_f64_e32 v[118:119], v[118:119], v[122:123]
	v_add_f64_e32 v[20:21], v[142:143], v[20:21]
	v_add_f64_e64 v[148:149], v[122:123], -v[112:113]
	v_add_f64_e64 v[184:185], v[36:37], -v[32:33]
	;; [unrolled: 1-line block ×4, first 2 shown]
	v_add_f64_e32 v[142:143], v[150:151], v[152:153]
	v_add_f64_e32 v[150:151], v[16:17], v[166:167]
	;; [unrolled: 1-line block ×4, first 2 shown]
	v_fma_f64 v[42:43], v[174:175], -0.5, v[8:9]
	v_fma_f64 v[172:173], v[198:199], -0.5, v[10:11]
	;; [unrolled: 1-line block ×4, first 2 shown]
	v_add_f64_e64 v[204:205], v[60:61], -v[32:33]
	v_add_f64_e64 v[214:215], v[62:63], -v[58:59]
	;; [unrolled: 1-line block ×6, first 2 shown]
	v_add_f64_e32 v[110:111], v[110:111], v[116:117]
	v_add_f64_e64 v[116:117], v[48:49], -v[52:53]
	v_add_f64_e64 v[62:63], v[62:63], -v[54:55]
	;; [unrolled: 1-line block ×3, first 2 shown]
	v_add_f64_e32 v[152:153], v[186:187], v[188:189]
	v_add_f64_e32 v[166:167], v[192:193], v[194:195]
	;; [unrolled: 1-line block ×4, first 2 shown]
	v_fma_f64 v[58:59], v[212:213], -0.5, v[4:5]
	v_add_f64_e32 v[48:49], v[224:225], v[48:49]
	v_fma_f64 v[192:193], v[226:227], -0.5, v[6:7]
	v_add_f64_e64 v[216:217], v[54:55], -v[50:51]
	v_fma_f64 v[4:5], v[218:219], -0.5, v[4:5]
	v_fma_f64 v[6:7], v[232:233], -0.5, v[6:7]
	v_add_f64_e64 v[242:243], v[46:47], -v[78:79]
	v_add_f64_e64 v[76:77], v[76:77], -v[64:65]
	v_add_f64_e32 v[132:133], v[132:133], v[134:135]
	v_add_f64_e64 v[134:135], v[72:73], -v[68:69]
	v_add_f64_e64 v[46:47], v[46:47], -v[70:71]
	v_add_f64_e32 v[138:139], v[138:139], v[140:141]
	v_add_f64_e64 v[140:141], v[78:79], -v[74:75]
	v_add_f64_e32 v[78:79], v[238:239], v[78:79]
	v_fma_f64 v[198:199], v[240:241], -0.5, v[0:1]
	v_add_f64_e32 v[98:99], v[98:99], v[108:109]
	v_add_f64_e32 v[72:73], v[160:161], v[72:73]
	v_fma_f64 v[108:109], v[162:163], -0.5, v[2:3]
	v_add_f64_e64 v[222:223], v[50:51], -v[54:55]
	v_fma_f64 v[0:1], v[246:247], -0.5, v[0:1]
	v_fma_f64 v[2:3], v[94:95], -0.5, v[2:3]
	v_add_f64_e32 v[26:27], v[66:67], v[26:27]
	v_fma_f64 v[66:67], v[82:83], s[10:11], v[80:81]
	v_add_f64_e32 v[22:23], v[96:97], v[22:23]
	v_fma_f64 v[96:97], v[100:101], s[14:15], v[90:91]
	v_add_f64_e32 v[156:157], v[156:157], v[88:89]
	v_add_f64_e32 v[94:95], v[158:159], v[106:107]
	v_fma_f64 v[80:81], v[82:83], s[14:15], v[80:81]
	v_fma_f64 v[88:89], v[84:85], s[14:15], v[12:13]
	;; [unrolled: 1-line block ×6, first 2 shown]
	v_add_f64_e32 v[112:113], v[118:119], v[112:113]
	v_fma_f64 v[118:119], v[128:129], s[10:11], v[126:127]
	v_add_f64_e32 v[20:21], v[20:21], v[28:29]
	v_fma_f64 v[28:29], v[120:121], s[14:15], v[146:147]
	v_fma_f64 v[158:159], v[130:131], s[14:15], v[136:137]
	;; [unrolled: 1-line block ×7, first 2 shown]
	v_add_f64_e32 v[16:17], v[16:17], v[38:39]
	v_fma_f64 v[38:39], v[176:177], s[10:11], v[42:43]
	v_add_f64_e32 v[32:33], v[36:37], v[32:33]
	v_fma_f64 v[36:37], v[124:125], s[14:15], v[172:173]
	v_fma_f64 v[162:163], v[184:185], s[14:15], v[8:9]
	;; [unrolled: 1-line block ×3, first 2 shown]
	v_add_f64_e32 v[174:175], v[202:203], v[204:205]
	v_fma_f64 v[204:205], v[184:185], s[10:11], v[8:9]
	v_fma_f64 v[208:209], v[200:201], s[14:15], v[10:11]
	v_fma_f64 v[42:43], v[176:177], s[14:15], v[42:43]
	v_fma_f64 v[172:173], v[124:125], s[10:11], v[172:173]
	v_add_f64_e64 v[230:231], v[44:45], -v[52:53]
	v_add_f64_e64 v[236:237], v[52:53], -v[44:45]
	v_add_f64_e32 v[40:41], v[40:41], v[50:51]
	v_fma_f64 v[50:51], v[56:57], s[10:11], v[58:59]
	v_add_f64_e32 v[48:49], v[48:49], v[52:53]
	v_fma_f64 v[52:53], v[62:63], s[14:15], v[192:193]
	;; [unrolled: 2-line block ×3, first 2 shown]
	v_fma_f64 v[214:215], v[122:123], s[10:11], v[6:7]
	v_fma_f64 v[212:213], v[116:117], s[10:11], v[4:5]
	v_fma_f64 v[216:217], v[122:123], s[14:15], v[6:7]
	v_fma_f64 v[58:59], v[56:57], s[14:15], v[58:59]
	v_fma_f64 v[192:193], v[62:63], s[10:11], v[192:193]
	v_add_f64_e64 v[244:245], v[70:71], -v[74:75]
	v_add_f64_e32 v[74:75], v[78:79], v[74:75]
	v_fma_f64 v[78:79], v[76:77], s[10:11], v[198:199]
	v_fma_f64 v[198:199], v[76:77], s[14:15], v[198:199]
	v_add_f64_e32 v[68:69], v[72:73], v[68:69]
	v_fma_f64 v[72:73], v[46:47], s[14:15], v[108:109]
	v_add_f64_e32 v[190:191], v[220:221], v[222:223]
	v_fma_f64 v[218:219], v[134:135], s[14:15], v[0:1]
	v_fma_f64 v[220:221], v[134:135], s[10:11], v[0:1]
	;; [unrolled: 1-line block ×5, first 2 shown]
	v_add_f64_e32 v[0:1], v[26:27], v[144:145]
	v_fma_f64 v[26:27], v[84:85], s[2:3], v[66:67]
	v_add_f64_e32 v[2:3], v[22:23], v[18:19]
	s_wait_alu 0xfffe
	v_fma_f64 v[22:23], v[102:103], s[12:13], v[96:97]
	v_fma_f64 v[66:67], v[84:85], s[12:13], v[80:81]
	v_fma_f64 v[80:81], v[82:83], s[2:3], v[88:89]
	v_fma_f64 v[88:89], v[100:101], s[12:13], v[106:107]
	v_fma_f64 v[82:83], v[82:83], s[12:13], v[12:13]
	v_fma_f64 v[84:85], v[102:103], s[2:3], v[90:91]
	v_fma_f64 v[90:91], v[100:101], s[2:3], v[14:15]
	v_fma_f64 v[96:97], v[130:131], s[2:3], v[118:119]
	v_fma_f64 v[28:29], v[148:149], s[12:13], v[28:29]
	v_add_f64_e32 v[4:5], v[112:113], v[114:115]
	v_fma_f64 v[102:103], v[128:129], s[2:3], v[158:159]
	v_fma_f64 v[114:115], v[120:121], s[12:13], v[160:161]
	;; [unrolled: 1-line block ×14, first 2 shown]
	v_add_f64_e32 v[194:195], v[228:229], v[230:231]
	v_fma_f64 v[148:149], v[116:117], s[2:3], v[50:51]
	v_fma_f64 v[160:161], v[122:123], s[12:13], v[52:53]
	v_add_f64_e32 v[196:197], v[234:235], v[236:237]
	v_fma_f64 v[154:155], v[56:57], s[2:3], v[210:211]
	v_fma_f64 v[162:163], v[62:63], s[12:13], v[214:215]
	;; [unrolled: 1-line block ×6, first 2 shown]
	v_add_f64_e32 v[202:203], v[242:243], v[244:245]
	v_fma_f64 v[176:177], v[134:135], s[2:3], v[78:79]
	v_fma_f64 v[134:135], v[134:135], s[12:13], v[198:199]
	;; [unrolled: 1-line block ×8, first 2 shown]
	v_add_f64_e32 v[6:7], v[20:21], v[24:25]
	v_fma_f64 v[20:21], v[86:87], s[6:7], v[26:27]
	v_fma_f64 v[22:23], v[104:105], s[6:7], v[22:23]
	v_add_f64_e32 v[8:9], v[16:17], v[34:35]
	v_add_f64_e32 v[10:11], v[32:33], v[60:61]
	v_fma_f64 v[32:33], v[92:93], s[6:7], v[80:81]
	v_fma_f64 v[34:35], v[110:111], s[6:7], v[88:89]
	;; [unrolled: 1-line block ×6, first 2 shown]
	v_add_f64_e32 v[12:13], v[40:41], v[54:55]
	v_fma_f64 v[40:41], v[132:133], s[6:7], v[96:97]
	v_fma_f64 v[42:43], v[142:143], s[6:7], v[28:29]
	v_add_f64_e32 v[14:15], v[48:49], v[44:45]
	v_fma_f64 v[48:49], v[138:139], s[6:7], v[102:103]
	v_fma_f64 v[50:51], v[150:151], s[6:7], v[114:115]
	;; [unrolled: 1-line block ×8, first 2 shown]
	v_add_f64_e32 v[18:19], v[68:69], v[64:65]
	v_fma_f64 v[64:65], v[166:167], s[6:7], v[128:129]
	v_fma_f64 v[66:67], v[186:187], s[6:7], v[146:147]
	v_add_f64_e32 v[16:17], v[74:75], v[70:71]
	v_fma_f64 v[68:69], v[166:167], s[6:7], v[130:131]
	v_fma_f64 v[70:71], v[186:187], s[6:7], v[124:125]
	;; [unrolled: 1-line block ×20, first 2 shown]
	v_lshlrev_b32_e32 v104, 4, v181
	v_lshlrev_b32_e32 v105, 4, v182
	;; [unrolled: 1-line block ×3, first 2 shown]
	v_lshlrev_b64_e32 v[28:29], 4, v[168:169]
	global_wb scope:SCOPE_SE
	s_barrier_signal -1
	s_barrier_wait -1
	global_inv scope:SCOPE_SE
	v_add3_u32 v104, 0, v104, v254
	v_add3_u32 v105, 0, v105, v254
	;; [unrolled: 1-line block ×3, first 2 shown]
	ds_store_b128 v165, v[0:3]
	ds_store_b128 v165, v[20:23] offset:208
	ds_store_b128 v165, v[32:35] offset:416
	;; [unrolled: 1-line block ×24, first 2 shown]
	v_add_co_u32 v0, s0, s4, v30
	s_wait_alu 0xf1ff
	v_add_co_ci_u32_e64 v1, s0, s5, v31, s0
	v_add_co_u32 v2, s0, s4, v28
	s_wait_alu 0xf1ff
	v_add_co_ci_u32_e64 v3, s0, s5, v29, s0
	global_wb scope:SCOPE_SE
	s_wait_dscnt 0x0
	s_barrier_signal -1
	s_barrier_wait -1
	global_inv scope:SCOPE_SE
	s_clause 0x8
	global_load_b128 v[4:7], v[170:171], off offset:848
	global_load_b128 v[8:11], v[170:171], off offset:832
	;; [unrolled: 1-line block ×9, first 2 shown]
	v_lshlrev_b32_e32 v168, 2, v180
	s_delay_alu instid0(VALU_DEP_1) | instskip(SKIP_1) | instid1(VALU_DEP_1)
	v_lshlrev_b64_e32 v[40:41], 4, v[168:169]
	v_lshlrev_b32_e32 v168, 2, v179
	v_lshlrev_b64_e32 v[60:61], 4, v[168:169]
	s_delay_alu instid0(VALU_DEP_3) | instskip(SKIP_1) | instid1(VALU_DEP_4)
	v_add_co_u32 v0, s0, s4, v40
	s_wait_alu 0xf1ff
	v_add_co_ci_u32_e64 v1, s0, s5, v41, s0
	s_clause 0x4
	global_load_b128 v[40:43], v[2:3], off offset:848
	global_load_b128 v[44:47], v[2:3], off offset:864
	;; [unrolled: 1-line block ×5, first 2 shown]
	v_add_co_u32 v2, s0, s4, v60
	s_wait_alu 0xf1ff
	v_add_co_ci_u32_e64 v3, s0, s5, v61, s0
	s_clause 0x5
	global_load_b128 v[60:63], v[0:1], off offset:864
	global_load_b128 v[64:67], v[0:1], off offset:880
	;; [unrolled: 1-line block ×6, first 2 shown]
	ds_load_b128 v[84:87], v165 offset:2080
	ds_load_b128 v[88:91], v165 offset:1040
	;; [unrolled: 1-line block ×3, first 2 shown]
	ds_load_b128 v[0:3], v178
	ds_load_b128 v[96:99], v165 offset:1248
	ds_load_b128 v[100:103], v165 offset:3120
	;; [unrolled: 1-line block ×17, first 2 shown]
	ds_load_b128 v[170:173], v249
	ds_load_b128 v[179:182], v165 offset:416
	s_wait_loadcnt_dscnt 0x1316
	v_mul_f64_e32 v[174:175], v[86:87], v[6:7]
	s_wait_loadcnt_dscnt 0x1215
	v_mul_f64_e32 v[166:167], v[90:91], v[10:11]
	v_mul_f64_e32 v[10:11], v[88:89], v[10:11]
	s_wait_loadcnt_dscnt 0x1114
	v_mul_f64_e32 v[183:184], v[94:95], v[14:15]
	;; [unrolled: 3-line block ×3, first 2 shown]
	v_mul_f64_e32 v[26:27], v[96:97], v[26:27]
	s_wait_dscnt 0xf
	v_mul_f64_e32 v[187:188], v[110:111], v[22:23]
	v_mul_f64_e32 v[189:190], v[108:109], v[22:23]
	s_wait_loadcnt 0xc
	v_mul_f64_e32 v[191:192], v[106:107], v[34:35]
	v_mul_f64_e32 v[34:35], v[104:105], v[34:35]
	s_wait_dscnt 0xd
	v_mul_f64_e32 v[193:194], v[118:119], v[30:31]
	v_mul_f64_e32 v[6:7], v[84:85], v[6:7]
	v_mul_f64_e32 v[176:177], v[102:103], v[18:19]
	v_mul_f64_e32 v[18:19], v[100:101], v[18:19]
	v_mul_f64_e32 v[30:31], v[116:117], v[30:31]
	s_wait_loadcnt_dscnt 0xb0b
	v_mul_f64_e32 v[195:196], v[126:127], v[38:39]
	v_mul_f64_e32 v[38:39], v[124:125], v[38:39]
	s_wait_loadcnt_dscnt 0x909
	v_mul_f64_e32 v[199:200], v[134:135], v[46:47]
	s_wait_loadcnt 0x8
	v_mul_f64_e32 v[201:202], v[122:123], v[50:51]
	v_mul_f64_e32 v[50:51], v[120:121], v[50:51]
	;; [unrolled: 1-line block ×5, first 2 shown]
	s_wait_loadcnt 0x6
	v_mul_f64_e32 v[203:204], v[130:131], v[58:59]
	v_mul_f64_e32 v[58:59], v[128:129], v[58:59]
	s_wait_dscnt 0x6
	v_mul_f64_e32 v[205:206], v[146:147], v[54:55]
	v_mul_f64_e32 v[54:55], v[144:145], v[54:55]
	s_wait_loadcnt 0x5
	v_mul_f64_e32 v[207:208], v[138:139], v[62:63]
	v_mul_f64_e32 v[62:63], v[136:137], v[62:63]
	s_wait_loadcnt_dscnt 0x403
	v_mul_f64_e32 v[209:210], v[158:159], v[66:67]
	v_mul_f64_e32 v[66:67], v[156:157], v[66:67]
	s_wait_loadcnt 0x3
	v_mul_f64_e32 v[211:212], v[142:143], v[70:71]
	v_mul_f64_e32 v[70:71], v[140:141], v[70:71]
	s_wait_loadcnt 0x2
	;; [unrolled: 3-line block ×3, first 2 shown]
	v_mul_f64_e32 v[215:216], v[154:155], v[78:79]
	v_mul_f64_e32 v[78:79], v[152:153], v[78:79]
	v_fma_f64 v[166:167], v[88:89], v[8:9], -v[166:167]
	v_fma_f64 v[90:91], v[90:91], v[8:9], v[10:11]
	s_wait_loadcnt_dscnt 0x2
	v_mul_f64_e32 v[217:218], v[162:163], v[82:83]
	v_mul_f64_e32 v[219:220], v[160:161], v[82:83]
	v_fma_f64 v[8:9], v[94:95], v[12:13], v[14:15]
	v_fma_f64 v[22:23], v[92:93], v[12:13], -v[183:184]
	v_fma_f64 v[92:93], v[96:97], v[24:25], -v[185:186]
	v_fma_f64 v[24:25], v[98:99], v[24:25], v[26:27]
	v_fma_f64 v[26:27], v[108:109], v[20:21], -v[187:188]
	v_fma_f64 v[94:95], v[110:111], v[20:21], v[189:190]
	;; [unrolled: 2-line block ×3, first 2 shown]
	v_fma_f64 v[20:21], v[116:117], v[28:29], -v[193:194]
	v_fma_f64 v[174:175], v[84:85], v[4:5], -v[174:175]
	v_fma_f64 v[221:222], v[86:87], v[4:5], v[6:7]
	v_fma_f64 v[100:101], v[100:101], v[16:17], -v[176:177]
	v_fma_f64 v[102:103], v[102:103], v[16:17], v[18:19]
	v_fma_f64 v[14:15], v[118:119], v[28:29], v[30:31]
	v_fma_f64 v[28:29], v[124:125], v[36:37], -v[195:196]
	v_fma_f64 v[30:31], v[126:127], v[36:37], v[38:39]
	v_fma_f64 v[18:19], v[120:121], v[48:49], -v[201:202]
	;; [unrolled: 2-line block ×12, first 2 shown]
	v_fma_f64 v[4:5], v[162:163], v[80:81], v[219:220]
	ds_load_b128 v[82:85], v165 offset:624
	ds_load_b128 v[86:89], v165 offset:832
	s_wait_dscnt 0x3
	v_add_f64_e32 v[66:67], v[170:171], v[166:167]
	v_add_f64_e32 v[78:79], v[166:167], v[22:23]
	;; [unrolled: 1-line block ×9, first 2 shown]
	v_add_f64_e64 v[70:71], v[90:91], -v[8:9]
	v_add_f64_e32 v[68:69], v[174:175], v[100:101]
	v_add_f64_e32 v[106:107], v[221:222], v[102:103]
	;; [unrolled: 1-line block ×3, first 2 shown]
	v_add_f64_e64 v[74:75], v[166:167], -v[174:175]
	v_add_f64_e64 v[80:81], v[174:175], -v[166:167]
	;; [unrolled: 1-line block ×10, first 2 shown]
	v_add_f64_e32 v[166:167], v[28:29], v[18:19]
	v_add_f64_e32 v[195:196], v[30:31], v[10:11]
	v_add_f64_e64 v[76:77], v[22:23], -v[100:101]
	v_add_f64_e64 v[114:115], v[8:9], -v[102:103]
	;; [unrolled: 1-line block ×7, first 2 shown]
	s_wait_dscnt 0x2
	v_add_f64_e32 v[152:153], v[179:180], v[28:29]
	v_add_f64_e32 v[154:155], v[34:35], v[38:39]
	v_add_f64_e64 v[156:157], v[30:31], -v[10:11]
	v_add_f64_e64 v[160:161], v[28:29], -v[34:35]
	;; [unrolled: 1-line block ×3, first 2 shown]
	v_add_f64_e32 v[185:186], v[181:182], v[30:31]
	v_add_f64_e64 v[191:192], v[30:31], -v[36:37]
	v_add_f64_e64 v[30:31], v[36:37], -v[30:31]
	v_add_f64_e64 v[197:198], v[40:41], -v[10:11]
	s_wait_dscnt 0x1
	v_add_f64_e32 v[199:200], v[82:83], v[42:43]
	v_add_f64_e32 v[201:202], v[46:47], v[50:51]
	;; [unrolled: 1-line block ×7, first 2 shown]
	v_add_f64_e64 v[98:99], v[100:101], -v[22:23]
	v_add_f64_e64 v[203:204], v[44:45], -v[6:7]
	v_add_f64_e64 v[223:224], v[44:45], -v[48:49]
	v_add_f64_e64 v[44:45], v[48:49], -v[44:45]
	v_add_f64_e64 v[229:230], v[52:53], -v[6:7]
	s_wait_dscnt 0x0
	v_add_f64_e32 v[231:232], v[86:87], v[54:55]
	v_add_f64_e32 v[233:234], v[58:59], v[62:63]
	;; [unrolled: 1-line block ×5, first 2 shown]
	v_fma_f64 v[122:123], v[122:123], -0.5, v[0:1]
	v_fma_f64 v[0:1], v[132:133], -0.5, v[0:1]
	;; [unrolled: 1-line block ×3, first 2 shown]
	v_add_f64_e32 v[140:141], v[56:57], v[4:5]
	v_add_f64_e64 v[72:73], v[221:222], -v[102:103]
	v_add_f64_e64 v[110:111], v[174:175], -v[100:101]
	v_fma_f64 v[68:69], v[68:69], -0.5, v[170:171]
	v_fma_f64 v[78:79], v[78:79], -0.5, v[170:171]
	;; [unrolled: 1-line block ×4, first 2 shown]
	v_add_f64_e64 v[148:149], v[60:61], -v[56:57]
	v_add_f64_e32 v[66:67], v[66:67], v[174:175]
	v_add_f64_e64 v[174:175], v[64:65], -v[4:5]
	v_add_f64_e32 v[104:105], v[104:105], v[221:222]
	v_fma_f64 v[116:117], v[116:117], -0.5, v[172:173]
	v_add_f64_e64 v[170:171], v[56:57], -v[60:61]
	v_add_f64_e64 v[172:173], v[4:5], -v[64:65]
	;; [unrolled: 1-line block ×5, first 2 shown]
	v_add_f64_e32 v[26:27], v[120:121], v[26:27]
	v_add_f64_e32 v[94:95], v[138:139], v[94:95]
	v_add_f64_e64 v[176:177], v[34:35], -v[28:29]
	v_add_f64_e64 v[183:184], v[38:39], -v[18:19]
	;; [unrolled: 1-line block ×5, first 2 shown]
	v_add_f64_e32 v[90:91], v[90:91], v[118:119]
	v_add_f64_e32 v[118:119], v[134:135], v[136:137]
	;; [unrolled: 1-line block ×3, first 2 shown]
	v_fma_f64 v[134:135], v[166:167], -0.5, v[179:180]
	v_fma_f64 v[146:147], v[195:196], -0.5, v[181:182]
	v_add_f64_e64 v[205:206], v[48:49], -v[52:53]
	v_add_f64_e64 v[207:208], v[42:43], -v[46:47]
	v_add_f64_e64 v[213:214], v[46:47], -v[42:43]
	v_add_f64_e32 v[74:75], v[74:75], v[76:77]
	v_add_f64_e64 v[76:77], v[46:47], -v[50:51]
	v_add_f64_e32 v[112:113], v[112:113], v[114:115]
	v_add_f64_e32 v[114:115], v[128:129], v[130:131]
	;; [unrolled: 1-line block ×4, first 2 shown]
	v_fma_f64 v[34:35], v[154:155], -0.5, v[179:180]
	v_add_f64_e32 v[130:131], v[160:161], v[162:163]
	v_add_f64_e32 v[150:151], v[30:31], v[197:198]
	;; [unrolled: 1-line block ×3, first 2 shown]
	v_fma_f64 v[46:47], v[201:202], -0.5, v[82:83]
	v_fma_f64 v[82:83], v[211:212], -0.5, v[82:83]
	;; [unrolled: 1-line block ×4, first 2 shown]
	v_add_f64_e64 v[28:29], v[28:29], -v[18:19]
	v_add_f64_e32 v[36:37], v[185:186], v[36:37]
	v_fma_f64 v[138:139], v[187:188], -0.5, v[181:182]
	v_add_f64_e64 v[42:43], v[42:43], -v[16:17]
	v_add_f64_e32 v[48:49], v[217:218], v[48:49]
	v_add_f64_e64 v[235:236], v[54:55], -v[58:59]
	v_add_f64_e64 v[241:242], v[58:59], -v[54:55]
	;; [unrolled: 1-line block ×3, first 2 shown]
	v_add_f64_e32 v[80:81], v[80:81], v[98:99]
	v_add_f64_e64 v[98:99], v[60:61], -v[64:65]
	v_add_f64_e64 v[54:55], v[54:55], -v[12:13]
	;; [unrolled: 1-line block ×3, first 2 shown]
	v_add_f64_e32 v[166:167], v[44:45], v[229:230]
	v_add_f64_e32 v[44:45], v[231:232], v[58:59]
	v_fma_f64 v[58:59], v[233:234], -0.5, v[86:87]
	v_add_f64_e32 v[60:61], v[245:246], v[60:61]
	v_fma_f64 v[181:182], v[247:248], -0.5, v[88:89]
	v_fma_f64 v[86:87], v[239:240], -0.5, v[86:87]
	;; [unrolled: 1-line block ×3, first 2 shown]
	v_add_f64_e32 v[140:141], v[148:149], v[174:175]
	v_add_f64_e32 v[66:67], v[66:67], v[100:101]
	v_fma_f64 v[100:101], v[70:71], s[10:11], v[68:69]
	v_fma_f64 v[68:69], v[70:71], s[14:15], v[68:69]
	;; [unrolled: 1-line block ×4, first 2 shown]
	v_add_f64_e32 v[102:103], v[104:105], v[102:103]
	v_fma_f64 v[104:105], v[108:109], s[14:15], v[106:107]
	v_add_f64_e32 v[170:171], v[170:171], v[172:173]
	v_fma_f64 v[172:173], v[110:111], s[10:11], v[116:117]
	v_fma_f64 v[116:117], v[110:111], s[14:15], v[116:117]
	;; [unrolled: 1-line block ×3, first 2 shown]
	v_add_f64_e32 v[26:27], v[26:27], v[96:97]
	v_fma_f64 v[96:97], v[124:125], s[10:11], v[122:123]
	v_add_f64_e32 v[32:33], v[94:95], v[32:33]
	v_fma_f64 v[94:95], v[92:93], s[14:15], v[132:133]
	v_fma_f64 v[122:123], v[124:125], s[14:15], v[122:123]
	;; [unrolled: 1-line block ×4, first 2 shown]
	v_add_f64_e32 v[136:137], v[176:177], v[183:184]
	v_fma_f64 v[183:184], v[126:127], s[10:11], v[0:1]
	v_fma_f64 v[187:188], v[142:143], s[14:15], v[2:3]
	;; [unrolled: 1-line block ×3, first 2 shown]
	v_add_f64_e32 v[144:145], v[191:192], v[193:194]
	v_fma_f64 v[191:192], v[158:159], s[14:15], v[134:135]
	v_fma_f64 v[193:194], v[189:190], s[10:11], v[146:147]
	v_add_f64_e64 v[215:216], v[50:51], -v[16:17]
	v_add_f64_e32 v[24:25], v[24:25], v[38:39]
	v_fma_f64 v[38:39], v[156:157], s[10:11], v[34:35]
	v_fma_f64 v[34:35], v[156:157], s[14:15], v[34:35]
	;; [unrolled: 1-line block ×5, first 2 shown]
	v_add_f64_e32 v[36:37], v[36:37], v[40:41]
	v_fma_f64 v[40:41], v[28:29], s[14:15], v[138:139]
	v_fma_f64 v[138:139], v[28:29], s[10:11], v[138:139]
	v_add_f64_e64 v[209:210], v[16:17], -v[50:51]
	v_add_f64_e64 v[225:226], v[6:7], -v[52:53]
	v_fma_f64 v[134:135], v[158:159], s[10:11], v[134:135]
	v_add_f64_e32 v[30:31], v[30:31], v[50:51]
	v_fma_f64 v[50:51], v[203:204], s[10:11], v[46:47]
	v_fma_f64 v[46:47], v[203:204], s[14:15], v[46:47]
	v_add_f64_e32 v[48:49], v[48:49], v[52:53]
	v_fma_f64 v[52:53], v[42:43], s[14:15], v[160:161]
	v_fma_f64 v[160:161], v[42:43], s[10:11], v[160:161]
	v_add_f64_e64 v[237:238], v[12:13], -v[62:63]
	v_add_f64_e64 v[243:244], v[62:63], -v[12:13]
	v_add_f64_e32 v[44:45], v[44:45], v[62:63]
	v_fma_f64 v[62:63], v[56:57], s[10:11], v[58:59]
	v_add_f64_e32 v[60:61], v[60:61], v[64:65]
	v_fma_f64 v[64:65], v[54:55], s[14:15], v[181:182]
	v_fma_f64 v[146:147], v[189:190], s[14:15], v[146:147]
	;; [unrolled: 1-line block ×9, first 2 shown]
	v_add_f64_e32 v[0:1], v[66:67], v[22:23]
	v_fma_f64 v[66:67], v[72:73], s[2:3], v[100:101]
	v_fma_f64 v[68:69], v[72:73], s[12:13], v[68:69]
	;; [unrolled: 1-line block ×5, first 2 shown]
	v_add_f64_e32 v[2:3], v[102:103], v[8:9]
	v_fma_f64 v[102:103], v[108:109], s[12:13], v[172:173]
	v_fma_f64 v[104:105], v[108:109], s[2:3], v[116:117]
	;; [unrolled: 1-line block ×13, first 2 shown]
	v_add_f64_e32 v[154:155], v[213:214], v[215:216]
	v_add_f64_e32 v[8:9], v[24:25], v[18:19]
	v_fma_f64 v[18:19], v[158:159], s[2:3], v[38:39]
	v_fma_f64 v[124:125], v[158:159], s[12:13], v[34:35]
	v_fma_f64 v[158:159], v[203:204], s[2:3], v[195:196]
	v_fma_f64 v[82:83], v[203:204], s[12:13], v[82:83]
	v_fma_f64 v[174:175], v[42:43], s[12:13], v[197:198]
	v_fma_f64 v[138:139], v[189:190], s[2:3], v[138:139]
	v_add_f64_e32 v[152:153], v[207:208], v[209:210]
	v_add_f64_e32 v[162:163], v[223:224], v[225:226]
	v_fma_f64 v[132:133], v[156:157], s[12:13], v[134:135]
	v_fma_f64 v[156:157], v[205:206], s[12:13], v[46:47]
	;; [unrolled: 1-line block ×6, first 2 shown]
	v_add_f64_e32 v[176:177], v[235:236], v[237:238]
	v_add_f64_e32 v[24:25], v[44:45], v[12:13]
	v_fma_f64 v[12:13], v[98:99], s[2:3], v[62:63]
	v_fma_f64 v[189:190], v[221:222], s[12:13], v[64:65]
	;; [unrolled: 1-line block ×3, first 2 shown]
	v_add_f64_e32 v[179:180], v[241:242], v[243:244]
	v_fma_f64 v[98:99], v[98:99], s[12:13], v[58:59]
	v_fma_f64 v[185:186], v[56:57], s[2:3], v[199:200]
	;; [unrolled: 1-line block ×7, first 2 shown]
	v_add_f64_e32 v[20:21], v[26:27], v[20:21]
	v_add_f64_e32 v[22:23], v[32:33], v[14:15]
	;; [unrolled: 1-line block ×5, first 2 shown]
	v_fma_f64 v[4:5], v[74:75], s[6:7], v[66:67]
	v_fma_f64 v[6:7], v[112:113], s[6:7], v[78:79]
	;; [unrolled: 1-line block ×4, first 2 shown]
	v_add_f64_e32 v[10:11], v[36:37], v[10:11]
	v_fma_f64 v[36:37], v[80:81], s[6:7], v[70:71]
	v_fma_f64 v[38:39], v[90:91], s[6:7], v[104:105]
	;; [unrolled: 1-line block ×36, first 2 shown]
	global_wb scope:SCOPE_SE
	s_barrier_signal -1
	s_barrier_wait -1
	global_inv scope:SCOPE_SE
	ds_store_b128 v165, v[0:3]
	ds_store_b128 v165, v[4:7] offset:1040
	ds_store_b128 v165, v[32:35] offset:2080
	;; [unrolled: 1-line block ×4, first 2 shown]
	ds_store_b128 v178, v[20:23]
	ds_store_b128 v178, v[40:43] offset:1040
	ds_store_b128 v178, v[48:51] offset:2080
	;; [unrolled: 1-line block ×19, first 2 shown]
	global_wb scope:SCOPE_SE
	s_wait_dscnt 0x0
	s_barrier_signal -1
	s_barrier_wait -1
	global_inv scope:SCOPE_SE
	s_and_saveexec_b32 s0, vcc_lo
	s_cbranch_execz .LBB0_17
; %bb.16:
	ds_load_b128 v[0:3], v249
	ds_load_b128 v[4:7], v249 offset:208
	ds_load_b128 v[8:11], v249 offset:416
	ds_load_b128 v[12:15], v249 offset:624
	scratch_load_b64 v[18:19], off, off th:TH_LOAD_LU ; 8-byte Folded Reload
	v_mov_b32_e32 v165, v169
	s_delay_alu instid0(VALU_DEP_1) | instskip(SKIP_4) | instid1(VALU_DEP_2)
	v_lshlrev_b64_e32 v[16:17], 4, v[164:165]
	s_wait_loadcnt 0x0
	v_add_co_u32 v18, vcc_lo, s8, v18
	s_wait_alu 0xfffd
	v_add_co_ci_u32_e32 v19, vcc_lo, s9, v19, vcc_lo
	v_add_co_u32 v84, vcc_lo, v18, v16
	s_wait_alu 0xfffd
	s_delay_alu instid0(VALU_DEP_2)
	v_add_co_ci_u32_e32 v85, vcc_lo, v19, v17, vcc_lo
	ds_load_b128 v[16:19], v249 offset:832
	ds_load_b128 v[20:23], v249 offset:1040
	s_wait_dscnt 0x5
	global_store_b128 v[84:85], v[0:3], off
	s_wait_dscnt 0x4
	global_store_b128 v[84:85], v[4:7], off offset:208
	s_wait_dscnt 0x3
	global_store_b128 v[84:85], v[8:11], off offset:416
	;; [unrolled: 2-line block ×3, first 2 shown]
	ds_load_b128 v[0:3], v249 offset:1248
	ds_load_b128 v[4:7], v249 offset:1456
	;; [unrolled: 1-line block ×19, first 2 shown]
	s_wait_dscnt 0x14
	global_store_b128 v[84:85], v[16:19], off offset:832
	s_wait_dscnt 0x13
	global_store_b128 v[84:85], v[20:23], off offset:1040
	;; [unrolled: 2-line block ×21, first 2 shown]
.LBB0_17:
	s_nop 0
	s_sendmsg sendmsg(MSG_DEALLOC_VGPRS)
	s_endpgm
	.section	.rodata,"a",@progbits
	.p2align	6, 0x0
	.amdhsa_kernel fft_rtc_fwd_len325_factors_13_5_5_wgs_52_tpt_13_dp_ip_CI_unitstride_sbrr_dirReg
		.amdhsa_group_segment_fixed_size 0
		.amdhsa_private_segment_fixed_size 48
		.amdhsa_kernarg_size 88
		.amdhsa_user_sgpr_count 2
		.amdhsa_user_sgpr_dispatch_ptr 0
		.amdhsa_user_sgpr_queue_ptr 0
		.amdhsa_user_sgpr_kernarg_segment_ptr 1
		.amdhsa_user_sgpr_dispatch_id 0
		.amdhsa_user_sgpr_private_segment_size 0
		.amdhsa_wavefront_size32 1
		.amdhsa_uses_dynamic_stack 0
		.amdhsa_enable_private_segment 1
		.amdhsa_system_sgpr_workgroup_id_x 1
		.amdhsa_system_sgpr_workgroup_id_y 0
		.amdhsa_system_sgpr_workgroup_id_z 0
		.amdhsa_system_sgpr_workgroup_info 0
		.amdhsa_system_vgpr_workitem_id 0
		.amdhsa_next_free_vgpr 256
		.amdhsa_next_free_sgpr 44
		.amdhsa_reserve_vcc 1
		.amdhsa_float_round_mode_32 0
		.amdhsa_float_round_mode_16_64 0
		.amdhsa_float_denorm_mode_32 3
		.amdhsa_float_denorm_mode_16_64 3
		.amdhsa_fp16_overflow 0
		.amdhsa_workgroup_processor_mode 1
		.amdhsa_memory_ordered 1
		.amdhsa_forward_progress 0
		.amdhsa_round_robin_scheduling 0
		.amdhsa_exception_fp_ieee_invalid_op 0
		.amdhsa_exception_fp_denorm_src 0
		.amdhsa_exception_fp_ieee_div_zero 0
		.amdhsa_exception_fp_ieee_overflow 0
		.amdhsa_exception_fp_ieee_underflow 0
		.amdhsa_exception_fp_ieee_inexact 0
		.amdhsa_exception_int_div_zero 0
	.end_amdhsa_kernel
	.text
.Lfunc_end0:
	.size	fft_rtc_fwd_len325_factors_13_5_5_wgs_52_tpt_13_dp_ip_CI_unitstride_sbrr_dirReg, .Lfunc_end0-fft_rtc_fwd_len325_factors_13_5_5_wgs_52_tpt_13_dp_ip_CI_unitstride_sbrr_dirReg
                                        ; -- End function
	.section	.AMDGPU.csdata,"",@progbits
; Kernel info:
; codeLenInByte = 15040
; NumSgprs: 46
; NumVgprs: 256
; ScratchSize: 48
; MemoryBound: 0
; FloatMode: 240
; IeeeMode: 1
; LDSByteSize: 0 bytes/workgroup (compile time only)
; SGPRBlocks: 5
; VGPRBlocks: 31
; NumSGPRsForWavesPerEU: 46
; NumVGPRsForWavesPerEU: 256
; Occupancy: 5
; WaveLimiterHint : 1
; COMPUTE_PGM_RSRC2:SCRATCH_EN: 1
; COMPUTE_PGM_RSRC2:USER_SGPR: 2
; COMPUTE_PGM_RSRC2:TRAP_HANDLER: 0
; COMPUTE_PGM_RSRC2:TGID_X_EN: 1
; COMPUTE_PGM_RSRC2:TGID_Y_EN: 0
; COMPUTE_PGM_RSRC2:TGID_Z_EN: 0
; COMPUTE_PGM_RSRC2:TIDIG_COMP_CNT: 0
	.text
	.p2alignl 7, 3214868480
	.fill 96, 4, 3214868480
	.type	__hip_cuid_ff6fdee87a92cc86,@object ; @__hip_cuid_ff6fdee87a92cc86
	.section	.bss,"aw",@nobits
	.globl	__hip_cuid_ff6fdee87a92cc86
__hip_cuid_ff6fdee87a92cc86:
	.byte	0                               ; 0x0
	.size	__hip_cuid_ff6fdee87a92cc86, 1

	.ident	"AMD clang version 19.0.0git (https://github.com/RadeonOpenCompute/llvm-project roc-6.4.0 25133 c7fe45cf4b819c5991fe208aaa96edf142730f1d)"
	.section	".note.GNU-stack","",@progbits
	.addrsig
	.addrsig_sym __hip_cuid_ff6fdee87a92cc86
	.amdgpu_metadata
---
amdhsa.kernels:
  - .args:
      - .actual_access:  read_only
        .address_space:  global
        .offset:         0
        .size:           8
        .value_kind:     global_buffer
      - .offset:         8
        .size:           8
        .value_kind:     by_value
      - .actual_access:  read_only
        .address_space:  global
        .offset:         16
        .size:           8
        .value_kind:     global_buffer
      - .actual_access:  read_only
        .address_space:  global
        .offset:         24
        .size:           8
        .value_kind:     global_buffer
      - .offset:         32
        .size:           8
        .value_kind:     by_value
      - .actual_access:  read_only
        .address_space:  global
        .offset:         40
        .size:           8
        .value_kind:     global_buffer
      - .actual_access:  read_only
        .address_space:  global
        .offset:         48
        .size:           8
        .value_kind:     global_buffer
      - .offset:         56
        .size:           4
        .value_kind:     by_value
      - .actual_access:  read_only
        .address_space:  global
        .offset:         64
        .size:           8
        .value_kind:     global_buffer
      - .actual_access:  read_only
        .address_space:  global
        .offset:         72
        .size:           8
        .value_kind:     global_buffer
      - .address_space:  global
        .offset:         80
        .size:           8
        .value_kind:     global_buffer
    .group_segment_fixed_size: 0
    .kernarg_segment_align: 8
    .kernarg_segment_size: 88
    .language:       OpenCL C
    .language_version:
      - 2
      - 0
    .max_flat_workgroup_size: 52
    .name:           fft_rtc_fwd_len325_factors_13_5_5_wgs_52_tpt_13_dp_ip_CI_unitstride_sbrr_dirReg
    .private_segment_fixed_size: 48
    .sgpr_count:     46
    .sgpr_spill_count: 0
    .symbol:         fft_rtc_fwd_len325_factors_13_5_5_wgs_52_tpt_13_dp_ip_CI_unitstride_sbrr_dirReg.kd
    .uniform_work_group_size: 1
    .uses_dynamic_stack: false
    .vgpr_count:     256
    .vgpr_spill_count: 11
    .wavefront_size: 32
    .workgroup_processor_mode: 1
amdhsa.target:   amdgcn-amd-amdhsa--gfx1201
amdhsa.version:
  - 1
  - 2
...

	.end_amdgpu_metadata
